;; amdgpu-corpus repo=ROCm/rocFFT kind=compiled arch=gfx906 opt=O3
	.text
	.amdgcn_target "amdgcn-amd-amdhsa--gfx906"
	.amdhsa_code_object_version 6
	.protected	fft_rtc_back_len1782_factors_11_3_3_3_3_2_wgs_99_tpt_99_halfLds_sp_ip_CI_unitstride_sbrr_dirReg ; -- Begin function fft_rtc_back_len1782_factors_11_3_3_3_3_2_wgs_99_tpt_99_halfLds_sp_ip_CI_unitstride_sbrr_dirReg
	.globl	fft_rtc_back_len1782_factors_11_3_3_3_3_2_wgs_99_tpt_99_halfLds_sp_ip_CI_unitstride_sbrr_dirReg
	.p2align	8
	.type	fft_rtc_back_len1782_factors_11_3_3_3_3_2_wgs_99_tpt_99_halfLds_sp_ip_CI_unitstride_sbrr_dirReg,@function
fft_rtc_back_len1782_factors_11_3_3_3_3_2_wgs_99_tpt_99_halfLds_sp_ip_CI_unitstride_sbrr_dirReg: ; @fft_rtc_back_len1782_factors_11_3_3_3_3_2_wgs_99_tpt_99_halfLds_sp_ip_CI_unitstride_sbrr_dirReg
; %bb.0:
	s_load_dwordx2 s[2:3], s[4:5], 0x50
	s_load_dwordx4 s[8:11], s[4:5], 0x0
	s_load_dwordx2 s[12:13], s[4:5], 0x18
	v_mul_u32_u24_e32 v1, 0x296, v0
	v_add_u32_sdwa v5, s6, v1 dst_sel:DWORD dst_unused:UNUSED_PAD src0_sel:DWORD src1_sel:WORD_1
	v_mov_b32_e32 v3, 0
	s_waitcnt lgkmcnt(0)
	v_cmp_lt_u64_e64 s[0:1], s[10:11], 2
	v_mov_b32_e32 v1, 0
	v_mov_b32_e32 v6, v3
	s_and_b64 vcc, exec, s[0:1]
	v_mov_b32_e32 v2, 0
	s_cbranch_vccnz .LBB0_8
; %bb.1:
	s_load_dwordx2 s[0:1], s[4:5], 0x10
	s_add_u32 s6, s12, 8
	s_addc_u32 s7, s13, 0
	v_mov_b32_e32 v1, 0
	v_mov_b32_e32 v2, 0
	s_waitcnt lgkmcnt(0)
	s_add_u32 s14, s0, 8
	s_addc_u32 s15, s1, 0
	s_mov_b64 s[16:17], 1
.LBB0_2:                                ; =>This Inner Loop Header: Depth=1
	s_load_dwordx2 s[18:19], s[14:15], 0x0
                                        ; implicit-def: $vgpr7_vgpr8
	s_waitcnt lgkmcnt(0)
	v_or_b32_e32 v4, s19, v6
	v_cmp_ne_u64_e32 vcc, 0, v[3:4]
	s_and_saveexec_b64 s[0:1], vcc
	s_xor_b64 s[20:21], exec, s[0:1]
	s_cbranch_execz .LBB0_4
; %bb.3:                                ;   in Loop: Header=BB0_2 Depth=1
	v_cvt_f32_u32_e32 v4, s18
	v_cvt_f32_u32_e32 v7, s19
	s_sub_u32 s0, 0, s18
	s_subb_u32 s1, 0, s19
	v_mac_f32_e32 v4, 0x4f800000, v7
	v_rcp_f32_e32 v4, v4
	v_mul_f32_e32 v4, 0x5f7ffffc, v4
	v_mul_f32_e32 v7, 0x2f800000, v4
	v_trunc_f32_e32 v7, v7
	v_mac_f32_e32 v4, 0xcf800000, v7
	v_cvt_u32_f32_e32 v7, v7
	v_cvt_u32_f32_e32 v4, v4
	v_mul_lo_u32 v8, s0, v7
	v_mul_hi_u32 v9, s0, v4
	v_mul_lo_u32 v11, s1, v4
	v_mul_lo_u32 v10, s0, v4
	v_add_u32_e32 v8, v9, v8
	v_add_u32_e32 v8, v8, v11
	v_mul_hi_u32 v9, v4, v10
	v_mul_lo_u32 v11, v4, v8
	v_mul_hi_u32 v13, v4, v8
	v_mul_hi_u32 v12, v7, v10
	v_mul_lo_u32 v10, v7, v10
	v_mul_hi_u32 v14, v7, v8
	v_add_co_u32_e32 v9, vcc, v9, v11
	v_addc_co_u32_e32 v11, vcc, 0, v13, vcc
	v_mul_lo_u32 v8, v7, v8
	v_add_co_u32_e32 v9, vcc, v9, v10
	v_addc_co_u32_e32 v9, vcc, v11, v12, vcc
	v_addc_co_u32_e32 v10, vcc, 0, v14, vcc
	v_add_co_u32_e32 v8, vcc, v9, v8
	v_addc_co_u32_e32 v9, vcc, 0, v10, vcc
	v_add_co_u32_e32 v4, vcc, v4, v8
	v_addc_co_u32_e32 v7, vcc, v7, v9, vcc
	v_mul_lo_u32 v8, s0, v7
	v_mul_hi_u32 v9, s0, v4
	v_mul_lo_u32 v10, s1, v4
	v_mul_lo_u32 v11, s0, v4
	v_add_u32_e32 v8, v9, v8
	v_add_u32_e32 v8, v8, v10
	v_mul_lo_u32 v12, v4, v8
	v_mul_hi_u32 v13, v4, v11
	v_mul_hi_u32 v14, v4, v8
	;; [unrolled: 1-line block ×3, first 2 shown]
	v_mul_lo_u32 v11, v7, v11
	v_mul_hi_u32 v9, v7, v8
	v_add_co_u32_e32 v12, vcc, v13, v12
	v_addc_co_u32_e32 v13, vcc, 0, v14, vcc
	v_mul_lo_u32 v8, v7, v8
	v_add_co_u32_e32 v11, vcc, v12, v11
	v_addc_co_u32_e32 v10, vcc, v13, v10, vcc
	v_addc_co_u32_e32 v9, vcc, 0, v9, vcc
	v_add_co_u32_e32 v8, vcc, v10, v8
	v_addc_co_u32_e32 v9, vcc, 0, v9, vcc
	v_add_co_u32_e32 v4, vcc, v4, v8
	v_addc_co_u32_e32 v9, vcc, v7, v9, vcc
	v_mad_u64_u32 v[7:8], s[0:1], v5, v9, 0
	v_mul_hi_u32 v10, v5, v4
	v_add_co_u32_e32 v11, vcc, v10, v7
	v_addc_co_u32_e32 v12, vcc, 0, v8, vcc
	v_mad_u64_u32 v[7:8], s[0:1], v6, v4, 0
	v_mad_u64_u32 v[9:10], s[0:1], v6, v9, 0
	v_add_co_u32_e32 v4, vcc, v11, v7
	v_addc_co_u32_e32 v4, vcc, v12, v8, vcc
	v_addc_co_u32_e32 v7, vcc, 0, v10, vcc
	v_add_co_u32_e32 v4, vcc, v4, v9
	v_addc_co_u32_e32 v9, vcc, 0, v7, vcc
	v_mul_lo_u32 v10, s19, v4
	v_mul_lo_u32 v11, s18, v9
	v_mad_u64_u32 v[7:8], s[0:1], s18, v4, 0
	v_add3_u32 v8, v8, v11, v10
	v_sub_u32_e32 v10, v6, v8
	v_mov_b32_e32 v11, s19
	v_sub_co_u32_e32 v7, vcc, v5, v7
	v_subb_co_u32_e64 v10, s[0:1], v10, v11, vcc
	v_subrev_co_u32_e64 v11, s[0:1], s18, v7
	v_subbrev_co_u32_e64 v10, s[0:1], 0, v10, s[0:1]
	v_cmp_le_u32_e64 s[0:1], s19, v10
	v_cndmask_b32_e64 v12, 0, -1, s[0:1]
	v_cmp_le_u32_e64 s[0:1], s18, v11
	v_cndmask_b32_e64 v11, 0, -1, s[0:1]
	v_cmp_eq_u32_e64 s[0:1], s19, v10
	v_cndmask_b32_e64 v10, v12, v11, s[0:1]
	v_add_co_u32_e64 v11, s[0:1], 2, v4
	v_addc_co_u32_e64 v12, s[0:1], 0, v9, s[0:1]
	v_add_co_u32_e64 v13, s[0:1], 1, v4
	v_addc_co_u32_e64 v14, s[0:1], 0, v9, s[0:1]
	v_subb_co_u32_e32 v8, vcc, v6, v8, vcc
	v_cmp_ne_u32_e64 s[0:1], 0, v10
	v_cmp_le_u32_e32 vcc, s19, v8
	v_cndmask_b32_e64 v10, v14, v12, s[0:1]
	v_cndmask_b32_e64 v12, 0, -1, vcc
	v_cmp_le_u32_e32 vcc, s18, v7
	v_cndmask_b32_e64 v7, 0, -1, vcc
	v_cmp_eq_u32_e32 vcc, s19, v8
	v_cndmask_b32_e32 v7, v12, v7, vcc
	v_cmp_ne_u32_e32 vcc, 0, v7
	v_cndmask_b32_e64 v7, v13, v11, s[0:1]
	v_cndmask_b32_e32 v8, v9, v10, vcc
	v_cndmask_b32_e32 v7, v4, v7, vcc
.LBB0_4:                                ;   in Loop: Header=BB0_2 Depth=1
	s_andn2_saveexec_b64 s[0:1], s[20:21]
	s_cbranch_execz .LBB0_6
; %bb.5:                                ;   in Loop: Header=BB0_2 Depth=1
	v_cvt_f32_u32_e32 v4, s18
	s_sub_i32 s20, 0, s18
	v_rcp_iflag_f32_e32 v4, v4
	v_mul_f32_e32 v4, 0x4f7ffffe, v4
	v_cvt_u32_f32_e32 v4, v4
	v_mul_lo_u32 v7, s20, v4
	v_mul_hi_u32 v7, v4, v7
	v_add_u32_e32 v4, v4, v7
	v_mul_hi_u32 v4, v5, v4
	v_mul_lo_u32 v7, v4, s18
	v_add_u32_e32 v8, 1, v4
	v_sub_u32_e32 v7, v5, v7
	v_subrev_u32_e32 v9, s18, v7
	v_cmp_le_u32_e32 vcc, s18, v7
	v_cndmask_b32_e32 v7, v7, v9, vcc
	v_cndmask_b32_e32 v4, v4, v8, vcc
	v_add_u32_e32 v8, 1, v4
	v_cmp_le_u32_e32 vcc, s18, v7
	v_cndmask_b32_e32 v7, v4, v8, vcc
	v_mov_b32_e32 v8, v3
.LBB0_6:                                ;   in Loop: Header=BB0_2 Depth=1
	s_or_b64 exec, exec, s[0:1]
	v_mul_lo_u32 v4, v8, s18
	v_mul_lo_u32 v11, v7, s19
	v_mad_u64_u32 v[9:10], s[0:1], v7, s18, 0
	s_load_dwordx2 s[0:1], s[6:7], 0x0
	s_add_u32 s16, s16, 1
	v_add3_u32 v4, v10, v11, v4
	v_sub_co_u32_e32 v5, vcc, v5, v9
	v_subb_co_u32_e32 v4, vcc, v6, v4, vcc
	s_waitcnt lgkmcnt(0)
	v_mul_lo_u32 v4, s0, v4
	v_mul_lo_u32 v6, s1, v5
	v_mad_u64_u32 v[1:2], s[0:1], s0, v5, v[1:2]
	s_addc_u32 s17, s17, 0
	s_add_u32 s6, s6, 8
	v_add3_u32 v2, v6, v2, v4
	v_mov_b32_e32 v4, s10
	v_mov_b32_e32 v5, s11
	s_addc_u32 s7, s7, 0
	v_cmp_ge_u64_e32 vcc, s[16:17], v[4:5]
	s_add_u32 s14, s14, 8
	s_addc_u32 s15, s15, 0
	s_cbranch_vccnz .LBB0_9
; %bb.7:                                ;   in Loop: Header=BB0_2 Depth=1
	v_mov_b32_e32 v5, v7
	v_mov_b32_e32 v6, v8
	s_branch .LBB0_2
.LBB0_8:
	v_mov_b32_e32 v8, v6
	v_mov_b32_e32 v7, v5
.LBB0_9:
	s_lshl_b64 s[0:1], s[10:11], 3
	s_add_u32 s0, s12, s0
	s_addc_u32 s1, s13, s1
	s_load_dwordx2 s[6:7], s[0:1], 0x0
	s_load_dwordx2 s[10:11], s[4:5], 0x20
	v_mov_b32_e32 v15, 0
                                        ; implicit-def: $vgpr37
                                        ; implicit-def: $vgpr43
                                        ; implicit-def: $vgpr39
                                        ; implicit-def: $vgpr33
                                        ; implicit-def: $vgpr31
                                        ; implicit-def: $vgpr25
                                        ; implicit-def: $vgpr27
                                        ; implicit-def: $vgpr41
                                        ; implicit-def: $vgpr47
                                        ; implicit-def: $vgpr21
                                        ; implicit-def: $vgpr17
                                        ; implicit-def: $vgpr13
                                        ; implicit-def: $vgpr9
                                        ; implicit-def: $vgpr29
                                        ; implicit-def: $vgpr23
                                        ; implicit-def: $vgpr19
                                        ; implicit-def: $vgpr11
                                        ; implicit-def: $vgpr45
                                        ; implicit-def: $vgpr35
	s_waitcnt lgkmcnt(0)
	v_mad_u64_u32 v[3:4], s[0:1], s6, v7, v[1:2]
	s_mov_b32 s0, 0x295fad5
	v_mul_lo_u32 v5, s6, v8
	v_mul_lo_u32 v6, s7, v7
	v_mul_hi_u32 v1, v0, s0
	v_cmp_gt_u64_e64 s[0:1], s[10:11], v[7:8]
                                        ; implicit-def: $vgpr7
	v_add3_u32 v4, v6, v4, v5
	v_mul_u32_u24_e32 v1, 0x63, v1
	v_sub_u32_e32 v2, v0, v1
	v_lshlrev_b64 v[0:1], 3, v[3:4]
	v_mov_b32_e32 v3, 0
                                        ; implicit-def: $vgpr5
	s_and_saveexec_b64 s[4:5], s[0:1]
	s_cbranch_execz .LBB0_13
; %bb.10:
	v_mov_b32_e32 v3, 0
	v_mov_b32_e32 v4, s3
	v_add_co_u32_e32 v6, vcc, s2, v0
	v_addc_co_u32_e32 v7, vcc, v4, v1, vcc
	v_lshlrev_b64 v[4:5], 3, v[2:3]
	v_mov_b32_e32 v15, v3
	v_add_co_u32_e32 v48, vcc, v6, v4
	v_addc_co_u32_e32 v49, vcc, v7, v5, vcc
	v_add_co_u32_e32 v4, vcc, 0x1000, v48
	v_addc_co_u32_e32 v5, vcc, 0, v49, vcc
	;; [unrolled: 2-line block ×3, first 2 shown]
	global_load_dwordx2 v[36:37], v[48:49], off
	global_load_dwordx2 v[42:43], v[48:49], off offset:1296
	global_load_dwordx2 v[38:39], v[48:49], off offset:2592
	;; [unrolled: 1-line block ×7, first 2 shown]
	v_add_co_u32_e32 v4, vcc, 0x3000, v48
	v_addc_co_u32_e32 v5, vcc, 0, v49, vcc
	global_load_dwordx2 v[40:41], v[6:7], off offset:2176
	global_load_dwordx2 v[44:45], v[6:7], off offset:3472
	;; [unrolled: 1-line block ×3, first 2 shown]
	v_cmp_gt_u32_e32 vcc, 63, v2
                                        ; implicit-def: $vgpr6
                                        ; implicit-def: $vgpr10
                                        ; implicit-def: $vgpr18
                                        ; implicit-def: $vgpr22
                                        ; implicit-def: $vgpr28
                                        ; implicit-def: $vgpr4
                                        ; implicit-def: $vgpr8
                                        ; implicit-def: $vgpr12
                                        ; implicit-def: $vgpr16
                                        ; implicit-def: $vgpr20
	s_and_saveexec_b64 s[6:7], vcc
	s_cbranch_execz .LBB0_12
; %bb.11:
	v_add_co_u32_e32 v18, vcc, 0x1000, v48
	v_addc_co_u32_e32 v19, vcc, 0, v49, vcc
	v_add_co_u32_e32 v50, vcc, 0x2000, v48
	v_addc_co_u32_e32 v51, vcc, 0, v49, vcc
	global_load_dwordx2 v[14:15], v[48:49], off offset:792
	global_load_dwordx2 v[20:21], v[48:49], off offset:2088
	;; [unrolled: 1-line block ×8, first 2 shown]
	v_add_co_u32_e32 v48, vcc, 0x3000, v48
	v_addc_co_u32_e32 v49, vcc, 0, v49, vcc
	global_load_dwordx2 v[18:19], v[50:51], off offset:2968
	global_load_dwordx2 v[22:23], v[48:49], off offset:168
	;; [unrolled: 1-line block ×3, first 2 shown]
	s_waitcnt vmcnt(10)
	v_mov_b32_e32 v3, v14
.LBB0_12:
	s_or_b64 exec, exec, s[6:7]
.LBB0_13:
	s_or_b64 exec, exec, s[4:5]
	s_waitcnt vmcnt(0)
	v_sub_f32_e32 v49, v43, v47
	v_mul_f32_e32 v50, 0xbf0a6770, v49
	v_mul_f32_e32 v52, 0xbf68dda4, v49
	;; [unrolled: 1-line block ×5, first 2 shown]
	v_add_f32_e32 v48, v42, v46
	s_mov_b32 s10, 0x3f575c64
	v_mov_b32_e32 v51, v50
	s_mov_b32 s6, 0x3ed4b147
	v_mov_b32_e32 v53, v52
	;; [unrolled: 2-line block ×5, first 2 shown]
	v_fmac_f32_e32 v51, 0x3f575c64, v48
	v_fma_f32 v50, v48, s10, -v50
	v_fmac_f32_e32 v53, 0x3ed4b147, v48
	v_fma_f32 v52, v48, s6, -v52
	;; [unrolled: 2-line block ×5, first 2 shown]
	v_sub_f32_e32 v49, v39, v45
	v_add_f32_e32 v14, v36, v42
	v_add_f32_e32 v51, v51, v36
	v_add_f32_e32 v50, v50, v36
	v_add_f32_e32 v53, v53, v36
	v_add_f32_e32 v52, v52, v36
	v_add_f32_e32 v55, v55, v36
	v_add_f32_e32 v54, v54, v36
	v_add_f32_e32 v57, v57, v36
	v_add_f32_e32 v56, v56, v36
	v_add_f32_e32 v58, v58, v36
	v_add_f32_e32 v36, v48, v36
	v_add_f32_e32 v48, v44, v38
	v_mul_f32_e32 v59, 0xbf68dda4, v49
	v_mov_b32_e32 v60, v59
	v_fma_f32 v59, v48, s6, -v59
	v_fmac_f32_e32 v60, 0x3ed4b147, v48
	v_add_f32_e32 v50, v50, v59
	v_mul_f32_e32 v59, 0xbf4178ce, v49
	v_add_f32_e32 v51, v51, v60
	v_mov_b32_e32 v60, v59
	v_fma_f32 v59, v48, s11, -v59
	v_fmac_f32_e32 v60, 0xbf27a4f4, v48
	v_add_f32_e32 v52, v52, v59
	v_mul_f32_e32 v59, 0x3e903f40, v49
	v_add_f32_e32 v53, v53, v60
	v_mov_b32_e32 v60, v59
	v_fma_f32 v59, v48, s12, -v59
	v_fmac_f32_e32 v60, 0xbf75a155, v48
	v_add_f32_e32 v54, v54, v59
	v_mul_f32_e32 v59, 0x3f7d64f0, v49
	v_add_f32_e32 v55, v55, v60
	v_mov_b32_e32 v60, v59
	v_fma_f32 v59, v48, s7, -v59
	v_mul_f32_e32 v49, 0x3f0a6770, v49
	v_add_f32_e32 v56, v56, v59
	v_mov_b32_e32 v59, v49
	v_fmac_f32_e32 v60, 0xbe11bafb, v48
	v_fmac_f32_e32 v59, 0x3f575c64, v48
	v_fma_f32 v48, v48, s10, -v49
	v_sub_f32_e32 v49, v33, v41
	v_add_f32_e32 v58, v58, v59
	v_add_f32_e32 v36, v36, v48
	v_add_f32_e32 v48, v32, v40
	v_mul_f32_e32 v59, 0xbf7d64f0, v49
	v_add_f32_e32 v57, v57, v60
	v_mov_b32_e32 v60, v59
	v_fma_f32 v59, v48, s7, -v59
	v_fmac_f32_e32 v60, 0xbe11bafb, v48
	v_add_f32_e32 v50, v59, v50
	v_mul_f32_e32 v59, 0x3e903f40, v49
	v_add_f32_e32 v51, v60, v51
	v_mov_b32_e32 v60, v59
	v_fma_f32 v59, v48, s12, -v59
	v_fmac_f32_e32 v60, 0xbf75a155, v48
	v_add_f32_e32 v52, v59, v52
	v_mul_f32_e32 v59, 0x3f68dda4, v49
	v_add_f32_e32 v53, v60, v53
	v_mov_b32_e32 v60, v59
	v_fma_f32 v59, v48, s6, -v59
	v_fmac_f32_e32 v60, 0x3ed4b147, v48
	v_add_f32_e32 v54, v59, v54
	v_mul_f32_e32 v59, 0xbf0a6770, v49
	v_add_f32_e32 v55, v60, v55
	v_mov_b32_e32 v60, v59
	v_fma_f32 v59, v48, s10, -v59
	v_mul_f32_e32 v49, 0xbf4178ce, v49
	v_add_f32_e32 v56, v59, v56
	v_mov_b32_e32 v59, v49
	v_fmac_f32_e32 v60, 0x3f575c64, v48
	v_fmac_f32_e32 v59, 0xbf27a4f4, v48
	v_fma_f32 v48, v48, s11, -v49
	v_sub_f32_e32 v49, v31, v35
	v_add_f32_e32 v58, v59, v58
	v_add_f32_e32 v36, v48, v36
	v_add_f32_e32 v48, v34, v30
	v_mul_f32_e32 v59, 0xbf4178ce, v49
	v_add_f32_e32 v57, v60, v57
	;; [unrolled: 32-line block ×3, first 2 shown]
	v_mov_b32_e32 v60, v59
	v_fma_f32 v59, v48, s12, -v59
	v_add_f32_e32 v14, v14, v38
	v_fmac_f32_e32 v60, 0xbf75a155, v48
	v_add_f32_e32 v50, v59, v50
	v_mul_f32_e32 v59, 0x3f0a6770, v49
	v_add_f32_e32 v14, v14, v32
	v_add_f32_e32 v51, v60, v51
	v_mov_b32_e32 v60, v59
	v_fma_f32 v59, v48, s10, -v59
	v_add_f32_e32 v14, v14, v30
	v_fmac_f32_e32 v60, 0x3f575c64, v48
	v_add_f32_e32 v59, v59, v52
	v_mul_f32_e32 v52, 0xbf4178ce, v49
	v_add_f32_e32 v14, v14, v24
	v_add_f32_e32 v53, v60, v53
	;; [unrolled: 8-line block ×3, first 2 shown]
	v_mov_b32_e32 v60, v52
	v_fma_f32 v52, v48, s6, -v52
	v_mul_f32_e32 v49, 0xbf7d64f0, v49
	v_add_f32_e32 v14, v14, v40
	v_add_f32_e32 v56, v52, v56
	v_mov_b32_e32 v52, v49
	v_add_f32_e32 v14, v44, v14
	v_fmac_f32_e32 v52, 0xbe11bafb, v48
	v_add_f32_e32 v14, v14, v46
	v_fmac_f32_e32 v60, 0x3ed4b147, v48
	v_add_f32_e32 v58, v52, v58
	v_fma_f32 v48, v48, s7, -v49
	v_mad_u32_u24 v52, v2, 44, 0
	v_cmp_gt_u32_e32 vcc, 63, v2
	v_add_f32_e32 v57, v60, v57
	v_add_f32_e32 v36, v48, v36
	ds_write2_b32 v52, v14, v51 offset1:1
	ds_write2_b32 v52, v53, v55 offset0:2 offset1:3
	ds_write2_b32 v52, v57, v58 offset0:4 offset1:5
	;; [unrolled: 1-line block ×4, first 2 shown]
	ds_write_b32 v52, v50 offset:40
	s_and_saveexec_b64 s[4:5], vcc
	s_cbranch_execz .LBB0_15
; %bb.14:
	v_add_f32_e32 v14, v20, v28
	v_mul_f32_e32 v36, 0xbf75a155, v14
	v_add_f32_e32 v50, v16, v22
	v_sub_f32_e32 v48, v21, v29
	v_mov_b32_e32 v49, v36
	v_mul_f32_e32 v51, 0x3f575c64, v50
	v_fmac_f32_e32 v49, 0x3e903f40, v48
	v_sub_f32_e32 v53, v17, v23
	v_mov_b32_e32 v54, v51
	v_add_f32_e32 v49, v3, v49
	v_fmac_f32_e32 v54, 0xbf0a6770, v53
	v_add_f32_e32 v49, v49, v54
	v_add_f32_e32 v54, v12, v18
	v_mul_f32_e32 v55, 0xbf27a4f4, v54
	v_sub_f32_e32 v56, v13, v19
	v_mov_b32_e32 v57, v55
	v_fmac_f32_e32 v57, 0x3f4178ce, v56
	v_add_f32_e32 v49, v49, v57
	v_add_f32_e32 v57, v8, v10
	v_mul_f32_e32 v58, 0x3ed4b147, v57
	v_sub_f32_e32 v59, v9, v11
	v_mov_b32_e32 v60, v58
	v_fmac_f32_e32 v36, 0xbe903f40, v48
	v_fmac_f32_e32 v60, 0xbf68dda4, v59
	v_add_f32_e32 v36, v3, v36
	v_fmac_f32_e32 v51, 0x3f0a6770, v53
	v_add_f32_e32 v49, v49, v60
	v_add_f32_e32 v60, v4, v6
	;; [unrolled: 1-line block ×3, first 2 shown]
	v_fmac_f32_e32 v55, 0xbf4178ce, v56
	v_mul_f32_e32 v61, 0xbe11bafb, v60
	v_sub_f32_e32 v62, v5, v7
	v_add_f32_e32 v36, v36, v55
	v_fmac_f32_e32 v58, 0x3f68dda4, v59
	v_mul_f32_e32 v51, 0xbf27a4f4, v14
	v_mov_b32_e32 v63, v61
	v_add_f32_e32 v36, v36, v58
	v_fmac_f32_e32 v61, 0xbf7d64f0, v62
	v_mov_b32_e32 v55, v51
	v_mul_f32_e32 v58, 0xbe11bafb, v50
	v_add_f32_e32 v36, v36, v61
	v_fmac_f32_e32 v55, 0x3f4178ce, v48
	v_mov_b32_e32 v61, v58
	v_add_f32_e32 v55, v3, v55
	v_fmac_f32_e32 v61, 0xbf7d64f0, v53
	v_fmac_f32_e32 v63, 0x3f7d64f0, v62
	v_add_f32_e32 v55, v55, v61
	v_mul_f32_e32 v61, 0x3f575c64, v54
	v_add_f32_e32 v49, v49, v63
	v_mov_b32_e32 v63, v61
	v_fmac_f32_e32 v63, 0x3f0a6770, v56
	v_add_f32_e32 v55, v55, v63
	v_mul_f32_e32 v63, 0xbf75a155, v57
	v_fmac_f32_e32 v51, 0xbf4178ce, v48
	v_mov_b32_e32 v64, v63
	v_add_f32_e32 v51, v3, v51
	v_fmac_f32_e32 v58, 0x3f7d64f0, v53
	v_fmac_f32_e32 v64, 0x3e903f40, v59
	v_add_f32_e32 v51, v51, v58
	v_fmac_f32_e32 v61, 0xbf0a6770, v56
	v_add_f32_e32 v55, v55, v64
	v_mul_f32_e32 v64, 0x3ed4b147, v60
	v_add_f32_e32 v51, v51, v61
	v_fmac_f32_e32 v63, 0xbe903f40, v59
	v_mul_f32_e32 v58, 0xbe11bafb, v14
	v_mov_b32_e32 v65, v64
	v_add_f32_e32 v51, v51, v63
	v_fmac_f32_e32 v64, 0x3f68dda4, v62
	v_mov_b32_e32 v61, v58
	v_mul_f32_e32 v63, 0xbf75a155, v50
	v_add_f32_e32 v51, v51, v64
	v_fmac_f32_e32 v61, 0x3f7d64f0, v48
	v_mov_b32_e32 v64, v63
	v_add_f32_e32 v61, v3, v61
	v_fmac_f32_e32 v64, 0xbe903f40, v53
	v_fmac_f32_e32 v65, 0xbf68dda4, v62
	v_add_f32_e32 v61, v61, v64
	v_mul_f32_e32 v64, 0x3ed4b147, v54
	v_add_f32_e32 v55, v55, v65
	v_mov_b32_e32 v65, v64
	v_fmac_f32_e32 v65, 0xbf68dda4, v56
	v_add_f32_e32 v61, v61, v65
	v_mul_f32_e32 v65, 0x3f575c64, v57
	v_fmac_f32_e32 v58, 0xbf7d64f0, v48
	v_mov_b32_e32 v66, v65
	v_add_f32_e32 v58, v3, v58
	v_fmac_f32_e32 v63, 0x3e903f40, v53
	v_fmac_f32_e32 v66, 0x3f0a6770, v59
	v_add_f32_e32 v58, v58, v63
	v_fmac_f32_e32 v64, 0x3f68dda4, v56
	v_add_f32_e32 v61, v61, v66
	v_mul_f32_e32 v66, 0xbf27a4f4, v60
	v_add_f32_e32 v58, v58, v64
	v_fmac_f32_e32 v65, 0xbf0a6770, v59
	v_mul_f32_e32 v63, 0x3ed4b147, v14
	v_mov_b32_e32 v67, v66
	v_add_f32_e32 v58, v58, v65
	v_fmac_f32_e32 v66, 0xbf4178ce, v62
	v_mov_b32_e32 v64, v63
	v_mul_f32_e32 v65, 0xbf27a4f4, v50
	v_fmac_f32_e32 v63, 0xbf68dda4, v48
	v_add_f32_e32 v58, v58, v66
	v_mov_b32_e32 v66, v65
	v_add_f32_e32 v63, v3, v63
	v_fmac_f32_e32 v65, 0xbf4178ce, v53
	v_mul_f32_e32 v14, 0x3f575c64, v14
	v_fmac_f32_e32 v64, 0x3f68dda4, v48
	v_add_f32_e32 v63, v63, v65
	v_mov_b32_e32 v65, v14
	v_add_f32_e32 v64, v3, v64
	v_fmac_f32_e32 v66, 0x3f4178ce, v53
	v_fmac_f32_e32 v65, 0x3f0a6770, v48
	;; [unrolled: 1-line block ×4, first 2 shown]
	v_add_f32_e32 v64, v64, v66
	v_mul_f32_e32 v66, 0xbf75a155, v54
	v_add_f32_e32 v65, v3, v65
	v_add_f32_e32 v14, v3, v14
	v_add_f32_e32 v3, v3, v20
	v_add_f32_e32 v61, v61, v67
	v_mov_b32_e32 v67, v66
	v_fmac_f32_e32 v66, 0x3e903f40, v56
	v_mul_f32_e32 v50, 0x3ed4b147, v50
	v_add_f32_e32 v3, v3, v16
	v_add_f32_e32 v63, v63, v66
	v_mov_b32_e32 v66, v50
	v_add_f32_e32 v3, v3, v12
	v_fmac_f32_e32 v67, 0xbe903f40, v56
	v_fmac_f32_e32 v66, 0x3f68dda4, v53
	v_mul_f32_e32 v54, 0xbe11bafb, v54
	v_add_f32_e32 v3, v3, v8
	v_add_f32_e32 v64, v64, v67
	v_mul_f32_e32 v67, 0xbe11bafb, v57
	v_add_f32_e32 v65, v65, v66
	v_mov_b32_e32 v66, v54
	v_add_f32_e32 v3, v3, v4
	v_mov_b32_e32 v68, v67
	v_fmac_f32_e32 v66, 0x3f7d64f0, v56
	v_mul_f32_e32 v57, 0xbf27a4f4, v57
	v_fmac_f32_e32 v50, 0xbf68dda4, v53
	v_add_f32_e32 v3, v3, v6
	v_fmac_f32_e32 v68, 0xbf7d64f0, v59
	v_add_f32_e32 v65, v65, v66
	v_mov_b32_e32 v66, v57
	v_add_f32_e32 v14, v14, v50
	v_fmac_f32_e32 v54, 0xbf7d64f0, v56
	v_add_f32_e32 v3, v10, v3
	v_add_f32_e32 v64, v64, v68
	v_mul_f32_e32 v68, 0x3f575c64, v60
	v_fmac_f32_e32 v66, 0x3f4178ce, v59
	v_mul_f32_e32 v60, 0xbf75a155, v60
	v_add_f32_e32 v14, v14, v54
	v_fmac_f32_e32 v57, 0xbf4178ce, v59
	v_add_f32_e32 v3, v18, v3
	v_fmac_f32_e32 v67, 0x3f7d64f0, v59
	v_add_f32_e32 v65, v65, v66
	v_mov_b32_e32 v66, v60
	v_add_f32_e32 v14, v14, v57
	v_fmac_f32_e32 v60, 0xbe903f40, v62
	v_add_f32_e32 v3, v22, v3
	v_mov_b32_e32 v69, v68
	v_add_f32_e32 v63, v63, v67
	v_fmac_f32_e32 v68, 0x3f0a6770, v62
	v_add_f32_e32 v14, v14, v60
	v_add_f32_e32 v3, v28, v3
	v_add_u32_e32 v48, 0x1104, v52
	v_add_f32_e32 v63, v63, v68
	ds_write2_b32 v48, v3, v14 offset1:1
	v_add_u32_e32 v3, 0x110c, v52
	ds_write2_b32 v3, v63, v58 offset1:1
	v_add_u32_e32 v3, 0x1114, v52
	v_fmac_f32_e32 v69, 0xbf0a6770, v62
	ds_write2_b32 v3, v51, v36 offset1:1
	v_add_u32_e32 v3, 0x111c, v52
	v_add_f32_e32 v64, v64, v69
	v_fmac_f32_e32 v66, 0x3e903f40, v62
	ds_write2_b32 v3, v49, v55 offset1:1
	v_add_u32_e32 v3, 0x1124, v52
	v_add_f32_e32 v65, v65, v66
	ds_write2_b32 v3, v61, v64 offset1:1
	ds_write_b32 v52, v65 offset:4396
.LBB0_15:
	s_or_b64 exec, exec, s[4:5]
	v_add_f32_e32 v3, v37, v43
	v_add_f32_e32 v3, v3, v39
	v_add_f32_e32 v3, v3, v33
	v_add_f32_e32 v3, v3, v31
	v_add_f32_e32 v3, v3, v25
	v_add_f32_e32 v3, v3, v27
	v_add_f32_e32 v3, v3, v35
	v_add_f32_e32 v3, v3, v41
	v_add_f32_e32 v3, v45, v3
	v_sub_f32_e32 v14, v42, v46
	v_add_f32_e32 v53, v3, v47
	v_add_f32_e32 v3, v43, v47
	v_mul_f32_e32 v36, 0xbf0a6770, v14
	v_mul_f32_e32 v43, 0xbf68dda4, v14
	;; [unrolled: 1-line block ×5, first 2 shown]
	v_fma_f32 v42, v3, s10, -v36
	v_fmac_f32_e32 v36, 0x3f575c64, v3
	v_fma_f32 v46, v3, s6, -v43
	v_fmac_f32_e32 v43, 0x3ed4b147, v3
	;; [unrolled: 2-line block ×5, first 2 shown]
	v_add_f32_e32 v42, v42, v37
	v_add_f32_e32 v36, v36, v37
	;; [unrolled: 1-line block ×10, first 2 shown]
	v_sub_f32_e32 v37, v38, v44
	v_add_f32_e32 v14, v45, v39
	v_mul_f32_e32 v38, 0xbf68dda4, v37
	v_fma_f32 v39, v14, s6, -v38
	v_fmac_f32_e32 v38, 0x3ed4b147, v14
	v_add_f32_e32 v36, v36, v38
	v_mul_f32_e32 v38, 0xbf4178ce, v37
	v_add_f32_e32 v39, v42, v39
	v_fma_f32 v42, v14, s11, -v38
	v_fmac_f32_e32 v38, 0xbf27a4f4, v14
	v_add_f32_e32 v38, v43, v38
	v_mul_f32_e32 v43, 0x3e903f40, v37
	v_fma_f32 v44, v14, s12, -v43
	v_fmac_f32_e32 v43, 0xbf75a155, v14
	v_mul_f32_e32 v45, 0x3f7d64f0, v37
	v_mul_f32_e32 v37, 0x3f0a6770, v37
	v_sub_f32_e32 v32, v32, v40
	v_add_f32_e32 v42, v46, v42
	v_add_f32_e32 v43, v47, v43
	v_fma_f32 v46, v14, s7, -v45
	v_fmac_f32_e32 v45, 0xbe11bafb, v14
	v_fma_f32 v47, v14, s10, -v37
	v_fmac_f32_e32 v37, 0x3f575c64, v14
	v_add_f32_e32 v14, v33, v41
	v_mul_f32_e32 v33, 0xbf7d64f0, v32
	v_add_f32_e32 v3, v3, v37
	v_fma_f32 v37, v14, s7, -v33
	v_fmac_f32_e32 v33, 0xbe11bafb, v14
	v_add_f32_e32 v33, v33, v36
	v_mul_f32_e32 v36, 0x3e903f40, v32
	v_add_f32_e32 v37, v37, v39
	v_fma_f32 v39, v14, s12, -v36
	v_fmac_f32_e32 v36, 0xbf75a155, v14
	v_add_f32_e32 v36, v36, v38
	v_mul_f32_e32 v38, 0x3f68dda4, v32
	v_fma_f32 v40, v14, s6, -v38
	v_fmac_f32_e32 v38, 0x3ed4b147, v14
	v_mul_f32_e32 v41, 0xbf0a6770, v32
	v_mul_f32_e32 v32, 0xbf4178ce, v32
	v_sub_f32_e32 v30, v30, v34
	v_add_f32_e32 v39, v39, v42
	v_add_f32_e32 v38, v38, v43
	v_fma_f32 v42, v14, s10, -v41
	v_fmac_f32_e32 v41, 0x3f575c64, v14
	v_fma_f32 v43, v14, s11, -v32
	v_fmac_f32_e32 v32, 0xbf27a4f4, v14
	v_add_f32_e32 v14, v35, v31
	v_mul_f32_e32 v31, 0xbf4178ce, v30
	v_add_f32_e32 v3, v32, v3
	v_fma_f32 v32, v14, s11, -v31
	v_fmac_f32_e32 v31, 0xbf27a4f4, v14
	v_add_f32_e32 v31, v33, v31
	v_mul_f32_e32 v33, 0x3f7d64f0, v30
	v_fma_f32 v34, v14, s7, -v33
	v_fmac_f32_e32 v33, 0xbe11bafb, v14
	v_mul_f32_e32 v35, 0xbf0a6770, v30
	v_add_f32_e32 v32, v37, v32
	v_add_f32_e32 v33, v36, v33
	v_fma_f32 v36, v14, s10, -v35
	v_fmac_f32_e32 v35, 0x3f575c64, v14
	v_mul_f32_e32 v37, 0xbe903f40, v30
	v_mul_f32_e32 v30, 0x3f68dda4, v30
	v_sub_f32_e32 v24, v24, v26
	v_add_f32_e32 v34, v39, v34
	v_add_f32_e32 v35, v38, v35
	v_fma_f32 v38, v14, s12, -v37
	v_fmac_f32_e32 v37, 0xbf75a155, v14
	v_fma_f32 v39, v14, s6, -v30
	v_fmac_f32_e32 v30, 0x3ed4b147, v14
	v_add_f32_e32 v14, v25, v27
	v_mul_f32_e32 v25, 0xbe903f40, v24
	v_fma_f32 v26, v14, s12, -v25
	v_fmac_f32_e32 v25, 0xbf75a155, v14
	v_add_f32_e32 v55, v25, v31
	v_mul_f32_e32 v25, 0x3f0a6770, v24
	v_add_f32_e32 v54, v26, v32
	v_fma_f32 v26, v14, s10, -v25
	v_fmac_f32_e32 v25, 0x3f575c64, v14
	v_add_f32_e32 v44, v48, v44
	v_add_f32_e32 v57, v25, v33
	v_mul_f32_e32 v25, 0xbf4178ce, v24
	v_add_f32_e32 v45, v49, v45
	v_add_f32_e32 v40, v40, v44
	;; [unrolled: 1-line block ×3, first 2 shown]
	v_fma_f32 v26, v14, s11, -v25
	v_fmac_f32_e32 v25, 0xbf27a4f4, v14
	v_add_f32_e32 v41, v41, v45
	v_add_f32_e32 v36, v40, v36
	v_add_f32_e32 v59, v25, v35
	v_mul_f32_e32 v25, 0x3f68dda4, v24
	v_add_f32_e32 v46, v50, v46
	v_add_f32_e32 v47, v51, v47
	;; [unrolled: 1-line block ×4, first 2 shown]
	v_fma_f32 v26, v14, s6, -v25
	v_fmac_f32_e32 v25, 0x3ed4b147, v14
	v_mul_f32_e32 v24, 0xbf7d64f0, v24
	s_movk_i32 s4, 0xffd8
	v_add_f32_e32 v42, v42, v46
	v_add_f32_e32 v43, v43, v47
	;; [unrolled: 1-line block ×4, first 2 shown]
	v_fma_f32 v25, v14, s7, -v24
	v_fmac_f32_e32 v24, 0xbe11bafb, v14
	v_mad_i32_i24 v44, v2, s4, v52
	v_add_f32_e32 v38, v42, v38
	v_add_f32_e32 v39, v43, v39
	v_add_f32_e32 v63, v24, v3
	v_add_u32_e32 v45, 0x800, v44
	v_add_u32_e32 v3, 0x1200, v44
	;; [unrolled: 1-line block ×8, first 2 shown]
	v_add_f32_e32 v60, v26, v38
	v_add_f32_e32 v62, v25, v39
	s_waitcnt lgkmcnt(0)
	s_barrier
	ds_read2_b32 v[30:31], v44 offset1:99
	ds_read2_b32 v[42:43], v45 offset0:82 offset1:181
	ds_read2_b32 v[40:41], v3 offset0:36 offset1:135
	;; [unrolled: 1-line block ×8, first 2 shown]
	v_add_u32_e32 v14, 0x63, v2
	s_waitcnt lgkmcnt(0)
	s_barrier
	ds_write2_b32 v52, v53, v54 offset1:1
	ds_write2_b32 v52, v56, v58 offset0:2 offset1:3
	ds_write2_b32 v52, v60, v62 offset0:4 offset1:5
	;; [unrolled: 1-line block ×4, first 2 shown]
	ds_write_b32 v52, v55 offset:40
	s_and_saveexec_b64 s[4:5], vcc
	s_cbranch_execz .LBB0_17
; %bb.16:
	v_add_f32_e32 v52, v15, v21
	v_add_f32_e32 v52, v52, v17
	;; [unrolled: 1-line block ×8, first 2 shown]
	v_sub_f32_e32 v20, v20, v28
	v_add_f32_e32 v52, v23, v52
	v_add_f32_e32 v21, v21, v29
	v_mul_f32_e32 v28, 0xbf0a6770, v20
	s_mov_b32 s6, 0x3f575c64
	v_mul_f32_e32 v53, 0xbf68dda4, v20
	s_mov_b32 s7, 0x3ed4b147
	;; [unrolled: 2-line block ×3, first 2 shown]
	v_mul_f32_e32 v57, 0xbf4178ce, v20
	v_mul_f32_e32 v20, 0xbe903f40, v20
	v_add_f32_e32 v52, v29, v52
	v_fma_f32 v29, v21, s6, -v28
	v_fmac_f32_e32 v28, 0x3f575c64, v21
	v_fma_f32 v54, v21, s7, -v53
	v_fmac_f32_e32 v53, 0x3ed4b147, v21
	;; [unrolled: 2-line block ×5, first 2 shown]
	v_sub_f32_e32 v16, v16, v22
	v_add_f32_e32 v29, v15, v29
	v_add_f32_e32 v28, v15, v28
	v_add_f32_e32 v54, v15, v54
	v_add_f32_e32 v53, v15, v53
	v_add_f32_e32 v56, v15, v56
	v_add_f32_e32 v55, v15, v55
	v_add_f32_e32 v58, v15, v58
	v_add_f32_e32 v57, v15, v57
	v_add_f32_e32 v59, v15, v59
	v_add_f32_e32 v15, v15, v20
	v_add_f32_e32 v17, v17, v23
	v_mul_f32_e32 v20, 0xbf68dda4, v16
	v_fma_f32 v21, v17, s7, -v20
	v_fmac_f32_e32 v20, 0x3ed4b147, v17
	v_mul_f32_e32 v22, 0xbf4178ce, v16
	v_add_f32_e32 v20, v28, v20
	v_fma_f32 v23, v17, s11, -v22
	v_fmac_f32_e32 v22, 0xbf27a4f4, v17
	v_mul_f32_e32 v28, 0x3e903f40, v16
	v_add_f32_e32 v21, v29, v21
	v_add_f32_e32 v22, v53, v22
	v_fma_f32 v29, v17, s12, -v28
	v_fmac_f32_e32 v28, 0xbf75a155, v17
	v_mul_f32_e32 v53, 0x3f7d64f0, v16
	v_mul_f32_e32 v16, 0x3f0a6770, v16
	v_add_f32_e32 v28, v55, v28
	v_fma_f32 v55, v17, s6, -v16
	v_fmac_f32_e32 v16, 0x3f575c64, v17
	v_sub_f32_e32 v12, v12, v18
	v_add_f32_e32 v15, v15, v16
	v_add_f32_e32 v13, v13, v19
	v_mul_f32_e32 v16, 0xbf7d64f0, v12
	v_add_f32_e32 v23, v54, v23
	v_fma_f32 v54, v17, s10, -v53
	v_fmac_f32_e32 v53, 0xbe11bafb, v17
	v_fma_f32 v17, v13, s10, -v16
	v_fmac_f32_e32 v16, 0xbe11bafb, v13
	v_mul_f32_e32 v18, 0x3e903f40, v12
	v_add_f32_e32 v16, v20, v16
	v_fma_f32 v19, v13, s12, -v18
	v_fmac_f32_e32 v18, 0xbf75a155, v13
	v_mul_f32_e32 v20, 0x3f68dda4, v12
	v_sub_f32_e32 v8, v8, v10
	v_add_f32_e32 v17, v21, v17
	v_add_f32_e32 v18, v22, v18
	v_fma_f32 v21, v13, s7, -v20
	v_fmac_f32_e32 v20, 0x3ed4b147, v13
	v_mul_f32_e32 v22, 0xbf0a6770, v12
	v_mul_f32_e32 v12, 0xbf4178ce, v12
	v_add_f32_e32 v9, v9, v11
	v_mul_f32_e32 v10, 0xbf4178ce, v8
	v_add_f32_e32 v19, v23, v19
	v_add_f32_e32 v20, v28, v20
	v_fma_f32 v23, v13, s6, -v22
	v_fmac_f32_e32 v22, 0x3f575c64, v13
	v_fma_f32 v28, v13, s11, -v12
	v_fmac_f32_e32 v12, 0xbf27a4f4, v13
	;; [unrolled: 2-line block ×3, first 2 shown]
	v_mul_f32_e32 v13, 0x3f7d64f0, v8
	v_add_f32_e32 v12, v15, v12
	v_add_f32_e32 v10, v16, v10
	v_fma_f32 v15, v9, s10, -v13
	v_fmac_f32_e32 v13, 0xbe11bafb, v9
	v_mul_f32_e32 v16, 0xbf0a6770, v8
	v_sub_f32_e32 v4, v4, v6
	v_add_f32_e32 v11, v17, v11
	v_add_f32_e32 v13, v18, v13
	v_fma_f32 v17, v9, s6, -v16
	v_fmac_f32_e32 v16, 0x3f575c64, v9
	v_mul_f32_e32 v18, 0xbe903f40, v8
	v_mul_f32_e32 v8, 0x3f68dda4, v8
	v_add_f32_e32 v5, v5, v7
	v_mul_f32_e32 v6, 0xbe903f40, v4
	v_add_f32_e32 v15, v19, v15
	v_add_f32_e32 v16, v20, v16
	v_fma_f32 v19, v9, s12, -v18
	v_fmac_f32_e32 v18, 0xbf75a155, v9
	v_fma_f32 v20, v9, s7, -v8
	v_fmac_f32_e32 v8, 0x3ed4b147, v9
	;; [unrolled: 2-line block ×3, first 2 shown]
	v_mul_f32_e32 v9, 0x3f0a6770, v4
	v_add_f32_e32 v29, v56, v29
	v_add_f32_e32 v54, v58, v54
	;; [unrolled: 1-line block ×6, first 2 shown]
	v_fma_f32 v10, v5, s6, -v9
	v_fmac_f32_e32 v9, 0x3f575c64, v5
	v_mul_f32_e32 v11, 0xbf4178ce, v4
	v_add_f32_e32 v21, v29, v21
	v_add_f32_e32 v23, v54, v23
	;; [unrolled: 1-line block ×6, first 2 shown]
	v_fma_f32 v12, v5, s11, -v11
	v_fmac_f32_e32 v11, 0xbf27a4f4, v5
	v_mul_f32_e32 v13, 0x3f68dda4, v4
	v_mul_f32_e32 v4, 0xbf7d64f0, v4
	v_add_f32_e32 v17, v21, v17
	v_add_f32_e32 v19, v23, v19
	;; [unrolled: 1-line block ×6, first 2 shown]
	v_fma_f32 v15, v5, s7, -v13
	v_fmac_f32_e32 v13, 0x3ed4b147, v5
	v_fma_f32 v16, v5, s10, -v4
	v_fmac_f32_e32 v4, 0xbe11bafb, v5
	v_mad_u32_u24 v5, v14, 44, 0
	v_add_f32_e32 v12, v17, v12
	v_add_f32_e32 v15, v19, v15
	;; [unrolled: 1-line block ×5, first 2 shown]
	ds_write2_b32 v5, v52, v7 offset1:1
	ds_write2_b32 v5, v10, v12 offset0:2 offset1:3
	ds_write2_b32 v5, v15, v16 offset0:4 offset1:5
	;; [unrolled: 1-line block ×4, first 2 shown]
	ds_write_b32 v5, v6 offset:40
.LBB0_17:
	s_or_b64 exec, exec, s[4:5]
	s_movk_i32 s4, 0x75
	v_mul_lo_u16_sdwa v4, v2, s4 dst_sel:DWORD dst_unused:UNUSED_PAD src0_sel:BYTE_0 src1_sel:DWORD
	v_sub_u16_sdwa v5, v2, v4 dst_sel:DWORD dst_unused:UNUSED_PAD src0_sel:DWORD src1_sel:BYTE_1
	v_lshrrev_b16_e32 v5, 1, v5
	v_and_b32_e32 v5, 0x7f, v5
	v_add_u16_sdwa v4, v5, v4 dst_sel:DWORD dst_unused:UNUSED_PAD src0_sel:DWORD src1_sel:BYTE_1
	v_lshrrev_b16_e32 v19, 3, v4
	v_mul_lo_u16_e32 v4, 11, v19
	v_sub_u16_e32 v20, v2, v4
	v_mov_b32_e32 v21, 4
	v_lshlrev_b32_sdwa v4, v21, v20 dst_sel:DWORD dst_unused:UNUSED_PAD src0_sel:DWORD src1_sel:BYTE_0
	s_waitcnt lgkmcnt(0)
	s_barrier
	global_load_dwordx4 v[8:11], v4, s[8:9]
	v_mul_lo_u16_sdwa v4, v14, s4 dst_sel:DWORD dst_unused:UNUSED_PAD src0_sel:BYTE_0 src1_sel:DWORD
	v_sub_u16_sdwa v5, v14, v4 dst_sel:DWORD dst_unused:UNUSED_PAD src0_sel:DWORD src1_sel:BYTE_1
	v_lshrrev_b16_e32 v5, 1, v5
	v_and_b32_e32 v5, 0x7f, v5
	v_add_u16_sdwa v4, v5, v4 dst_sel:DWORD dst_unused:UNUSED_PAD src0_sel:DWORD src1_sel:BYTE_1
	v_lshrrev_b16_e32 v28, 3, v4
	v_mul_lo_u16_e32 v4, 11, v28
	v_sub_u16_e32 v29, v14, v4
	v_lshlrev_b32_sdwa v4, v21, v29 dst_sel:DWORD dst_unused:UNUSED_PAD src0_sel:DWORD src1_sel:BYTE_0
	v_add_u32_e32 v6, 0xc6, v2
	s_mov_b32 s4, 0xba2f
	global_load_dwordx4 v[15:18], v4, s[8:9]
	v_mul_u32_u24_sdwa v4, v6, s4 dst_sel:DWORD dst_unused:UNUSED_PAD src0_sel:WORD_0 src1_sel:DWORD
	v_lshrrev_b32_e32 v68, 19, v4
	v_mul_lo_u16_e32 v4, 11, v68
	v_sub_u16_e32 v69, v6, v4
	v_lshlrev_b32_e32 v4, 4, v69
	v_add_u32_e32 v7, 0x129, v2
	global_load_dwordx4 v[52:55], v4, s[8:9]
	v_mul_u32_u24_sdwa v4, v7, s4 dst_sel:DWORD dst_unused:UNUSED_PAD src0_sel:WORD_0 src1_sel:DWORD
	v_lshrrev_b32_e32 v70, 19, v4
	v_mul_lo_u16_e32 v4, 11, v70
	v_sub_u16_e32 v71, v7, v4
	v_lshlrev_b32_e32 v4, 4, v71
	v_add_u32_e32 v23, 0x18c, v2
	;; [unrolled: 7-line block ×3, first 2 shown]
	global_load_dwordx4 v[60:63], v4, s[8:9]
	v_mul_u32_u24_sdwa v4, v22, s4 dst_sel:DWORD dst_unused:UNUSED_PAD src0_sel:WORD_0 src1_sel:DWORD
	v_lshrrev_b32_e32 v74, 19, v4
	v_mul_lo_u16_e32 v4, 11, v74
	v_sub_u16_e32 v75, v22, v4
	v_lshlrev_b32_e32 v4, 4, v75
	global_load_dwordx4 v[64:67], v4, s[8:9]
	ds_read2_b32 v[4:5], v45 offset0:82 offset1:181
	ds_read2_b32 v[12:13], v3 offset0:36 offset1:135
	s_movk_i32 s4, 0xf9
	s_waitcnt vmcnt(5) lgkmcnt(1)
	v_mul_f32_e32 v76, v4, v9
	v_mul_f32_e32 v9, v42, v9
	s_waitcnt lgkmcnt(0)
	v_mul_f32_e32 v77, v12, v11
	v_mul_f32_e32 v11, v40, v11
	v_fmac_f32_e32 v76, v42, v8
	v_fma_f32 v42, v4, v8, -v9
	v_fmac_f32_e32 v77, v40, v10
	v_fma_f32 v40, v12, v10, -v11
	ds_read2_b32 v[8:9], v44 offset1:99
	ds_read2_b32 v[10:11], v48 offset0:24 offset1:123
	s_waitcnt vmcnt(4)
	v_mul_f32_e32 v78, v5, v16
	v_mul_f32_e32 v4, v43, v16
	v_fmac_f32_e32 v78, v43, v15
	v_fma_f32 v43, v5, v15, -v4
	ds_read2_b32 v[4:5], v46 offset0:106 offset1:205
	v_mul_f32_e32 v79, v13, v18
	v_mul_f32_e32 v12, v41, v18
	s_waitcnt vmcnt(3) lgkmcnt(1)
	v_mul_f32_e32 v80, v10, v53
	v_mul_f32_e32 v15, v38, v53
	;; [unrolled: 1-line block ×3, first 2 shown]
	v_fmac_f32_e32 v79, v41, v17
	v_fma_f32 v41, v13, v17, -v12
	ds_read2_b32 v[12:13], v47 offset0:70 offset1:169
	s_waitcnt lgkmcnt(1)
	v_mul_f32_e32 v53, v4, v55
	v_fmac_f32_e32 v80, v38, v52
	v_fma_f32 v38, v10, v52, -v15
	v_fma_f32 v4, v4, v54, -v16
	ds_read2_b32 v[15:16], v51 offset0:140 offset1:239
	ds_read2_b32 v[17:18], v49 offset0:94 offset1:193
	v_fmac_f32_e32 v53, v36, v54
	s_waitcnt vmcnt(2)
	v_mul_f32_e32 v36, v11, v57
	v_mul_f32_e32 v10, v39, v57
	v_fmac_f32_e32 v36, v39, v56
	v_fma_f32 v39, v11, v56, -v10
	ds_read2_b32 v[10:11], v50 offset0:48 offset1:147
	v_mul_f32_e32 v52, v5, v59
	v_fmac_f32_e32 v52, v37, v58
	v_mul_f32_e32 v37, v37, v59
	v_fma_f32 v5, v5, v58, -v37
	s_waitcnt vmcnt(1) lgkmcnt(1)
	v_mul_f32_e32 v37, v17, v61
	v_fmac_f32_e32 v37, v34, v60
	v_mul_f32_e32 v34, v34, v61
	v_fma_f32 v17, v17, v60, -v34
	s_waitcnt lgkmcnt(0)
	v_mul_f32_e32 v34, v10, v63
	v_fmac_f32_e32 v34, v32, v62
	v_mul_f32_e32 v32, v32, v63
	v_fma_f32 v10, v10, v62, -v32
	s_waitcnt vmcnt(0)
	v_mul_f32_e32 v32, v18, v65
	v_fmac_f32_e32 v32, v35, v64
	v_mul_f32_e32 v35, v35, v65
	v_fma_f32 v18, v18, v64, -v35
	v_mul_f32_e32 v35, v11, v67
	v_fmac_f32_e32 v35, v33, v66
	v_mul_f32_e32 v33, v33, v67
	v_add_f32_e32 v54, v76, v77
	v_fma_f32 v11, v11, v66, -v33
	v_add_f32_e32 v33, v30, v76
	v_fma_f32 v30, -0.5, v54, v30
	v_sub_f32_e32 v54, v42, v40
	v_mov_b32_e32 v55, v30
	v_fmac_f32_e32 v55, 0xbf5db3d7, v54
	v_fmac_f32_e32 v30, 0x3f5db3d7, v54
	v_add_f32_e32 v54, v8, v42
	v_add_f32_e32 v62, v54, v40
	;; [unrolled: 1-line block ×3, first 2 shown]
	v_fma_f32 v8, -0.5, v40, v8
	v_sub_f32_e32 v40, v76, v77
	v_mov_b32_e32 v63, v8
	v_add_f32_e32 v42, v78, v79
	v_fmac_f32_e32 v63, 0x3f5db3d7, v40
	v_fmac_f32_e32 v8, 0xbf5db3d7, v40
	v_add_f32_e32 v40, v31, v78
	v_fmac_f32_e32 v31, -0.5, v42
	v_sub_f32_e32 v42, v43, v41
	v_mov_b32_e32 v54, v31
	v_fmac_f32_e32 v54, 0xbf5db3d7, v42
	v_fmac_f32_e32 v31, 0x3f5db3d7, v42
	v_add_f32_e32 v42, v9, v43
	v_add_f32_e32 v64, v42, v41
	;; [unrolled: 1-line block ×3, first 2 shown]
	v_fmac_f32_e32 v9, -0.5, v41
	v_sub_f32_e32 v41, v78, v79
	v_mov_b32_e32 v65, v9
	v_add_f32_e32 v42, v80, v53
	v_fmac_f32_e32 v65, 0x3f5db3d7, v41
	v_fmac_f32_e32 v9, 0xbf5db3d7, v41
	v_add_f32_e32 v41, v26, v80
	v_fma_f32 v26, -0.5, v42, v26
	v_sub_f32_e32 v42, v38, v4
	v_mov_b32_e32 v43, v26
	v_fmac_f32_e32 v43, 0xbf5db3d7, v42
	v_fmac_f32_e32 v26, 0x3f5db3d7, v42
	v_add_f32_e32 v42, v12, v38
	v_add_f32_e32 v66, v42, v4
	;; [unrolled: 1-line block ×3, first 2 shown]
	v_fma_f32 v12, -0.5, v4, v12
	v_sub_f32_e32 v4, v80, v53
	v_mov_b32_e32 v38, v12
	v_add_f32_e32 v42, v36, v52
	v_fmac_f32_e32 v38, 0x3f5db3d7, v4
	v_fmac_f32_e32 v12, 0xbf5db3d7, v4
	v_add_f32_e32 v4, v27, v36
	v_fmac_f32_e32 v27, -0.5, v42
	v_add_f32_e32 v41, v41, v53
	v_sub_f32_e32 v42, v39, v5
	v_mov_b32_e32 v53, v27
	v_fmac_f32_e32 v53, 0xbf5db3d7, v42
	v_fmac_f32_e32 v27, 0x3f5db3d7, v42
	v_add_f32_e32 v42, v13, v39
	v_add_f32_e32 v67, v42, v5
	;; [unrolled: 1-line block ×3, first 2 shown]
	v_fmac_f32_e32 v13, -0.5, v5
	v_sub_f32_e32 v5, v36, v52
	v_mov_b32_e32 v36, v13
	v_add_f32_e32 v39, v37, v34
	v_fmac_f32_e32 v36, 0x3f5db3d7, v5
	v_fmac_f32_e32 v13, 0xbf5db3d7, v5
	v_add_f32_e32 v5, v24, v37
	v_fma_f32 v24, -0.5, v39, v24
	v_sub_f32_e32 v39, v17, v10
	v_mov_b32_e32 v42, v24
	v_fmac_f32_e32 v42, 0xbf5db3d7, v39
	v_fmac_f32_e32 v24, 0x3f5db3d7, v39
	v_add_f32_e32 v39, v15, v17
	v_add_f32_e32 v39, v39, v10
	;; [unrolled: 1-line block ×3, first 2 shown]
	v_fma_f32 v10, -0.5, v10, v15
	v_add_f32_e32 v5, v5, v34
	v_sub_f32_e32 v15, v37, v34
	v_mov_b32_e32 v17, v10
	v_add_f32_e32 v34, v32, v35
	v_fmac_f32_e32 v17, 0x3f5db3d7, v15
	v_fmac_f32_e32 v10, 0xbf5db3d7, v15
	v_add_f32_e32 v15, v25, v32
	v_fmac_f32_e32 v25, -0.5, v34
	v_sub_f32_e32 v34, v18, v11
	v_mov_b32_e32 v37, v25
	v_fmac_f32_e32 v37, 0xbf5db3d7, v34
	v_fmac_f32_e32 v25, 0x3f5db3d7, v34
	v_add_f32_e32 v34, v16, v18
	v_add_f32_e32 v34, v34, v11
	;; [unrolled: 1-line block ×3, first 2 shown]
	v_fmac_f32_e32 v16, -0.5, v11
	v_sub_f32_e32 v11, v32, v35
	v_mov_b32_e32 v18, v16
	v_mov_b32_e32 v76, 2
	v_fmac_f32_e32 v18, 0x3f5db3d7, v11
	v_fmac_f32_e32 v16, 0xbf5db3d7, v11
	v_mul_u32_u24_e32 v11, 0x84, v19
	v_lshlrev_b32_sdwa v19, v76, v20 dst_sel:DWORD dst_unused:UNUSED_PAD src0_sel:DWORD src1_sel:BYTE_0
	v_add3_u32 v11, 0, v11, v19
	v_mul_u32_u24_e32 v19, 0x84, v28
	v_lshlrev_b32_sdwa v20, v76, v29 dst_sel:DWORD dst_unused:UNUSED_PAD src0_sel:DWORD src1_sel:BYTE_0
	v_add3_u32 v28, 0, v19, v20
	v_mul_u32_u24_e32 v19, 0x84, v68
	v_lshlrev_b32_e32 v20, 2, v69
	v_add_f32_e32 v33, v33, v77
	v_add_f32_e32 v40, v40, v79
	v_add3_u32 v29, 0, v19, v20
	v_mul_u32_u24_e32 v19, 0x84, v70
	v_lshlrev_b32_e32 v20, 2, v71
	v_add_f32_e32 v4, v4, v52
	s_barrier
	ds_write2_b32 v11, v33, v55 offset1:11
	ds_write_b32 v11, v30 offset:88
	ds_write2_b32 v28, v40, v54 offset1:11
	ds_write_b32 v28, v31 offset:88
	;; [unrolled: 2-line block ×3, first 2 shown]
	v_add3_u32 v26, 0, v19, v20
	ds_write2_b32 v26, v4, v53 offset1:11
	ds_write_b32 v26, v27 offset:88
	v_mul_u32_u24_e32 v4, 0x84, v72
	v_lshlrev_b32_e32 v19, 2, v73
	v_add3_u32 v27, 0, v4, v19
	ds_write2_b32 v27, v5, v42 offset1:11
	ds_write_b32 v27, v24 offset:88
	v_mul_u32_u24_e32 v4, 0x84, v74
	v_lshlrev_b32_e32 v5, 2, v75
	v_add_f32_e32 v15, v15, v35
	v_add3_u32 v24, 0, v4, v5
	ds_write2_b32 v24, v15, v37 offset1:11
	ds_write_b32 v24, v25 offset:88
	s_waitcnt lgkmcnt(0)
	s_barrier
	ds_read2_b32 v[4:5], v44 offset1:99
	ds_read2_b32 v[19:20], v45 offset0:82 offset1:181
	ds_read2_b32 v[40:41], v3 offset0:36 offset1:135
	ds_read2_b32 v[42:43], v47 offset0:70 offset1:169
	ds_read2_b32 v[52:53], v48 offset0:24 offset1:123
	ds_read2_b32 v[54:55], v46 offset0:106 offset1:205
	ds_read2_b32 v[56:57], v51 offset0:140 offset1:239
	ds_read2_b32 v[58:59], v49 offset0:94 offset1:193
	ds_read2_b32 v[60:61], v50 offset0:48 offset1:147
	s_waitcnt lgkmcnt(0)
	s_barrier
	ds_write2_b32 v11, v62, v63 offset1:11
	ds_write_b32 v11, v8 offset:88
	ds_write2_b32 v28, v64, v65 offset1:11
	ds_write_b32 v28, v9 offset:88
	;; [unrolled: 2-line block ×6, first 2 shown]
	v_mul_lo_u16_sdwa v8, v2, s4 dst_sel:DWORD dst_unused:UNUSED_PAD src0_sel:BYTE_0 src1_sel:DWORD
	v_mul_lo_u16_sdwa v12, v14, s4 dst_sel:DWORD dst_unused:UNUSED_PAD src0_sel:BYTE_0 src1_sel:DWORD
	v_lshrrev_b16_e32 v64, 13, v8
	v_lshrrev_b16_e32 v66, 13, v12
	v_mul_lo_u16_e32 v8, 33, v64
	v_mul_lo_u16_e32 v12, 33, v66
	v_sub_u16_e32 v65, v2, v8
	v_sub_u16_e32 v67, v14, v12
	v_lshlrev_b32_sdwa v8, v21, v65 dst_sel:DWORD dst_unused:UNUSED_PAD src0_sel:DWORD src1_sel:BYTE_0
	v_lshlrev_b32_sdwa v12, v21, v67 dst_sel:DWORD dst_unused:UNUSED_PAD src0_sel:DWORD src1_sel:BYTE_0
	s_mov_b32 s4, 0xf83f
	s_waitcnt lgkmcnt(0)
	s_barrier
	global_load_dwordx4 v[8:11], v8, s[8:9] offset:176
	s_nop 0
	global_load_dwordx4 v[15:18], v12, s[8:9] offset:176
	v_mul_u32_u24_sdwa v12, v6, s4 dst_sel:DWORD dst_unused:UNUSED_PAD src0_sel:WORD_0 src1_sel:DWORD
	v_lshrrev_b32_e32 v21, 21, v12
	v_mul_lo_u16_e32 v12, 33, v21
	v_sub_u16_e32 v68, v6, v12
	v_lshlrev_b32_e32 v12, 4, v68
	global_load_dwordx4 v[24:27], v12, s[8:9] offset:176
	v_mul_u32_u24_sdwa v12, v7, s4 dst_sel:DWORD dst_unused:UNUSED_PAD src0_sel:WORD_0 src1_sel:DWORD
	v_lshrrev_b32_e32 v69, 21, v12
	v_mul_lo_u16_e32 v12, 33, v69
	v_sub_u16_e32 v70, v7, v12
	v_lshlrev_b32_e32 v12, 4, v70
	;; [unrolled: 6-line block ×4, first 2 shown]
	global_load_dwordx4 v[36:39], v12, s[8:9] offset:176
	ds_read2_b32 v[12:13], v45 offset0:82 offset1:181
	ds_read2_b32 v[62:63], v3 offset0:36 offset1:135
	s_mov_b32 s4, 0xa57f
	s_waitcnt vmcnt(5) lgkmcnt(1)
	v_mul_f32_e32 v75, v12, v9
	v_mul_f32_e32 v9, v19, v9
	v_fmac_f32_e32 v75, v19, v8
	v_fma_f32 v77, v12, v8, -v9
	s_waitcnt lgkmcnt(0)
	v_mul_f32_e32 v78, v62, v11
	v_mul_f32_e32 v8, v40, v11
	s_waitcnt vmcnt(4)
	v_mul_f32_e32 v12, v20, v16
	v_fmac_f32_e32 v78, v40, v10
	v_fma_f32 v40, v62, v10, -v8
	ds_read2_b32 v[8:9], v44 offset1:99
	ds_read2_b32 v[10:11], v47 offset0:70 offset1:169
	v_mul_f32_e32 v62, v13, v16
	v_fma_f32 v79, v13, v15, -v12
	ds_read2_b32 v[12:13], v48 offset0:24 offset1:123
	v_fmac_f32_e32 v62, v20, v15
	v_mul_f32_e32 v80, v63, v18
	v_mul_f32_e32 v15, v41, v18
	v_fmac_f32_e32 v80, v41, v17
	v_fma_f32 v41, v63, v17, -v15
	ds_read2_b32 v[15:16], v46 offset0:106 offset1:205
	s_waitcnt vmcnt(3) lgkmcnt(1)
	v_mul_f32_e32 v63, v12, v25
	v_mul_f32_e32 v17, v52, v25
	v_fmac_f32_e32 v63, v52, v24
	v_fma_f32 v24, v12, v24, -v17
	v_mul_f32_e32 v12, v54, v27
	s_waitcnt lgkmcnt(0)
	v_mul_f32_e32 v25, v15, v27
	v_fma_f32 v15, v15, v26, -v12
	s_waitcnt vmcnt(2)
	v_mul_f32_e32 v12, v53, v29
	v_fmac_f32_e32 v25, v54, v26
	ds_read2_b32 v[17:18], v51 offset0:140 offset1:239
	ds_read2_b32 v[19:20], v49 offset0:94 offset1:193
	v_mul_f32_e32 v26, v13, v29
	v_fma_f32 v27, v13, v28, -v12
	ds_read2_b32 v[12:13], v50 offset0:48 offset1:147
	v_fmac_f32_e32 v26, v53, v28
	v_mul_f32_e32 v28, v16, v31
	v_mul_f32_e32 v29, v55, v31
	v_fmac_f32_e32 v28, v55, v30
	v_fma_f32 v16, v16, v30, -v29
	s_waitcnt vmcnt(1)
	v_mul_f32_e32 v30, v58, v33
	s_waitcnt lgkmcnt(1)
	v_mul_f32_e32 v29, v19, v33
	v_fma_f32 v19, v19, v32, -v30
	s_waitcnt lgkmcnt(0)
	v_mul_f32_e32 v30, v12, v35
	v_mul_f32_e32 v31, v60, v35
	v_fmac_f32_e32 v29, v58, v32
	v_fmac_f32_e32 v30, v60, v34
	v_fma_f32 v12, v12, v34, -v31
	s_waitcnt vmcnt(0)
	v_mul_f32_e32 v32, v59, v37
	v_mul_f32_e32 v33, v61, v39
	v_add_f32_e32 v34, v75, v78
	v_mul_f32_e32 v31, v20, v37
	v_fma_f32 v20, v20, v36, -v32
	v_mul_f32_e32 v32, v13, v39
	v_fma_f32 v13, v13, v38, -v33
	v_add_f32_e32 v33, v4, v75
	v_fma_f32 v4, -0.5, v34, v4
	v_fmac_f32_e32 v31, v59, v36
	v_sub_f32_e32 v34, v77, v40
	v_mov_b32_e32 v35, v4
	v_add_f32_e32 v36, v77, v40
	v_fmac_f32_e32 v35, 0xbf5db3d7, v34
	v_fmac_f32_e32 v4, 0x3f5db3d7, v34
	v_add_f32_e32 v34, v8, v77
	v_fma_f32 v8, -0.5, v36, v8
	v_sub_f32_e32 v36, v75, v78
	v_mov_b32_e32 v58, v8
	v_add_f32_e32 v37, v62, v80
	v_fmac_f32_e32 v58, 0x3f5db3d7, v36
	v_fmac_f32_e32 v8, 0xbf5db3d7, v36
	v_add_f32_e32 v36, v5, v62
	v_fmac_f32_e32 v5, -0.5, v37
	v_fmac_f32_e32 v32, v61, v38
	v_sub_f32_e32 v37, v79, v41
	v_mov_b32_e32 v38, v5
	v_add_f32_e32 v39, v63, v25
	v_fmac_f32_e32 v38, 0xbf5db3d7, v37
	v_fmac_f32_e32 v5, 0x3f5db3d7, v37
	v_add_f32_e32 v37, v9, v79
	v_fma_f32 v39, -0.5, v39, v42
	v_add_f32_e32 v34, v34, v40
	v_add_f32_e32 v59, v37, v41
	;; [unrolled: 1-line block ×3, first 2 shown]
	v_sub_f32_e32 v40, v24, v15
	v_mov_b32_e32 v41, v39
	v_fmac_f32_e32 v9, -0.5, v37
	v_fmac_f32_e32 v41, 0xbf5db3d7, v40
	v_fmac_f32_e32 v39, 0x3f5db3d7, v40
	v_add_f32_e32 v40, v10, v24
	v_sub_f32_e32 v37, v62, v80
	v_mov_b32_e32 v60, v9
	v_add_f32_e32 v61, v40, v15
	v_add_f32_e32 v15, v24, v15
	v_fmac_f32_e32 v60, 0x3f5db3d7, v37
	v_fmac_f32_e32 v9, 0xbf5db3d7, v37
	v_add_f32_e32 v37, v42, v63
	v_fma_f32 v10, -0.5, v15, v10
	v_add_f32_e32 v37, v37, v25
	v_sub_f32_e32 v15, v63, v25
	v_mov_b32_e32 v24, v10
	v_add_f32_e32 v25, v26, v28
	v_fmac_f32_e32 v24, 0x3f5db3d7, v15
	v_fmac_f32_e32 v10, 0xbf5db3d7, v15
	v_add_f32_e32 v15, v43, v26
	v_fmac_f32_e32 v43, -0.5, v25
	v_sub_f32_e32 v25, v27, v16
	v_mov_b32_e32 v40, v43
	v_fmac_f32_e32 v40, 0xbf5db3d7, v25
	v_fmac_f32_e32 v43, 0x3f5db3d7, v25
	v_add_f32_e32 v25, v11, v27
	v_add_f32_e32 v25, v25, v16
	;; [unrolled: 1-line block ×4, first 2 shown]
	v_fma_f32 v27, -0.5, v27, v56
	v_add_f32_e32 v15, v15, v28
	v_fmac_f32_e32 v11, -0.5, v16
	v_sub_f32_e32 v16, v26, v28
	v_sub_f32_e32 v28, v19, v12
	v_mov_b32_e32 v42, v27
	v_fmac_f32_e32 v42, 0xbf5db3d7, v28
	v_fmac_f32_e32 v27, 0x3f5db3d7, v28
	v_add_f32_e32 v28, v17, v19
	v_add_f32_e32 v28, v28, v12
	;; [unrolled: 1-line block ×3, first 2 shown]
	v_mov_b32_e32 v26, v11
	v_fma_f32 v17, -0.5, v12, v17
	v_fmac_f32_e32 v26, 0x3f5db3d7, v16
	v_fmac_f32_e32 v11, 0xbf5db3d7, v16
	v_add_f32_e32 v16, v56, v29
	v_sub_f32_e32 v12, v29, v30
	v_mov_b32_e32 v29, v17
	v_add_f32_e32 v19, v31, v32
	v_fmac_f32_e32 v29, 0x3f5db3d7, v12
	v_fmac_f32_e32 v17, 0xbf5db3d7, v12
	v_add_f32_e32 v12, v57, v31
	v_fmac_f32_e32 v57, -0.5, v19
	v_add_f32_e32 v16, v16, v30
	v_sub_f32_e32 v19, v20, v13
	v_mov_b32_e32 v30, v57
	v_fmac_f32_e32 v30, 0xbf5db3d7, v19
	v_fmac_f32_e32 v57, 0x3f5db3d7, v19
	v_add_f32_e32 v19, v18, v20
	v_add_f32_e32 v62, v19, v13
	;; [unrolled: 1-line block ×3, first 2 shown]
	v_fmac_f32_e32 v18, -0.5, v13
	v_sub_f32_e32 v13, v31, v32
	v_mov_b32_e32 v31, v18
	v_fmac_f32_e32 v31, 0x3f5db3d7, v13
	v_fmac_f32_e32 v18, 0xbf5db3d7, v13
	v_mul_u32_u24_e32 v13, 0x18c, v64
	v_lshlrev_b32_sdwa v19, v76, v65 dst_sel:DWORD dst_unused:UNUSED_PAD src0_sel:DWORD src1_sel:BYTE_0
	v_add_f32_e32 v33, v33, v78
	v_add_f32_e32 v12, v12, v32
	v_add3_u32 v32, 0, v13, v19
	s_barrier
	ds_write2_b32 v32, v33, v35 offset1:33
	ds_write_b32 v32, v4 offset:264
	v_mul_u32_u24_e32 v4, 0x18c, v66
	v_lshlrev_b32_sdwa v13, v76, v67 dst_sel:DWORD dst_unused:UNUSED_PAD src0_sel:DWORD src1_sel:BYTE_0
	v_add_f32_e32 v36, v36, v80
	v_add3_u32 v4, 0, v4, v13
	ds_write2_b32 v4, v36, v38 offset1:33
	ds_write_b32 v4, v5 offset:264
	v_mul_u32_u24_e32 v5, 0x18c, v21
	v_lshlrev_b32_e32 v13, 2, v68
	v_add3_u32 v5, 0, v5, v13
	v_mul_u32_u24_e32 v13, 0x18c, v69
	v_lshlrev_b32_e32 v19, 2, v70
	v_add3_u32 v21, 0, v13, v19
	ds_write2_b32 v5, v37, v41 offset1:33
	ds_write_b32 v5, v39 offset:264
	ds_write2_b32 v21, v15, v40 offset1:33
	ds_write_b32 v21, v43 offset:264
	v_mul_u32_u24_e32 v13, 0x18c, v71
	v_lshlrev_b32_e32 v15, 2, v72
	v_add3_u32 v15, 0, v13, v15
	ds_write2_b32 v15, v16, v42 offset1:33
	ds_write_b32 v15, v27 offset:264
	v_mul_u32_u24_e32 v13, 0x18c, v73
	v_lshlrev_b32_e32 v16, 2, v74
	v_add3_u32 v16, 0, v13, v16
	ds_write2_b32 v16, v12, v30 offset1:33
	ds_write_b32 v16, v57 offset:264
	s_waitcnt lgkmcnt(0)
	s_barrier
	ds_read2_b32 v[12:13], v44 offset1:99
	ds_read2_b32 v[19:20], v45 offset0:82 offset1:181
	ds_read2_b32 v[36:37], v3 offset0:36 offset1:135
	;; [unrolled: 1-line block ×8, first 2 shown]
	s_waitcnt lgkmcnt(0)
	s_barrier
	ds_write2_b32 v32, v34, v58 offset1:33
	ds_write_b32 v32, v8 offset:264
	ds_write2_b32 v4, v59, v60 offset1:33
	ds_write_b32 v4, v9 offset:264
	;; [unrolled: 2-line block ×6, first 2 shown]
	v_lshlrev_b32_e32 v4, 1, v2
	v_mov_b32_e32 v5, 0
	v_lshlrev_b64 v[8:9], 3, v[4:5]
	v_mul_u32_u24_sdwa v4, v6, s4 dst_sel:DWORD dst_unused:UNUSED_PAD src0_sel:WORD_0 src1_sel:DWORD
	v_mul_u32_u24_sdwa v24, v7, s4 dst_sel:DWORD dst_unused:UNUSED_PAD src0_sel:WORD_0 src1_sel:DWORD
	v_lshrrev_b32_e32 v4, 22, v4
	v_lshrrev_b32_e32 v24, 22, v24
	v_mul_lo_u16_e32 v4, 0x63, v4
	v_mul_lo_u16_e32 v24, 0x63, v24
	v_sub_u16_e32 v4, v6, v4
	v_sub_u16_e32 v74, v7, v24
	v_mov_b32_e32 v21, s9
	v_add_co_u32_e32 v58, vcc, s8, v8
	v_lshlrev_b32_e32 v15, 4, v4
	v_lshlrev_b32_e32 v7, 4, v74
	s_waitcnt lgkmcnt(0)
	s_barrier
	v_addc_co_u32_e32 v59, vcc, v21, v9, vcc
	global_load_dwordx4 v[15:18], v15, s[8:9] offset:704
	v_lshl_add_u32 v4, v4, 2, 0
	global_load_dwordx4 v[24:27], v7, s[8:9] offset:704
	v_mul_u32_u24_sdwa v7, v23, s4 dst_sel:DWORD dst_unused:UNUSED_PAD src0_sel:WORD_0 src1_sel:DWORD
	global_load_dwordx4 v[8:11], v[58:59], off offset:704
	v_lshrrev_b32_e32 v7, 22, v7
	v_mul_lo_u16_e32 v7, 0x63, v7
	v_sub_u16_e32 v75, v23, v7
	v_lshlrev_b32_e32 v7, 4, v75
	global_load_dwordx4 v[28:31], v7, s[8:9] offset:704
	v_mul_u32_u24_sdwa v7, v22, s4 dst_sel:DWORD dst_unused:UNUSED_PAD src0_sel:WORD_0 src1_sel:DWORD
	v_lshrrev_b32_e32 v7, 22, v7
	v_mul_lo_u16_e32 v7, 0x63, v7
	v_sub_u16_e32 v76, v22, v7
	v_lshlrev_b32_e32 v7, 4, v76
	global_load_dwordx4 v[32:35], v7, s[8:9] offset:704
	ds_read2_b32 v[60:61], v44 offset1:99
	ds_read2_b32 v[62:63], v45 offset0:82 offset1:181
	ds_read2_b32 v[64:65], v3 offset0:36 offset1:135
	;; [unrolled: 1-line block ×6, first 2 shown]
	s_movk_i32 s4, 0x1000
	s_waitcnt vmcnt(2) lgkmcnt(5)
	v_mul_f32_e32 v77, v62, v9
	v_mul_f32_e32 v7, v19, v9
	v_fmac_f32_e32 v77, v19, v8
	v_fma_f32 v19, v62, v8, -v7
	s_waitcnt lgkmcnt(4)
	v_mul_f32_e32 v62, v64, v11
	v_mul_f32_e32 v78, v63, v9
	;; [unrolled: 1-line block ×3, first 2 shown]
	v_fmac_f32_e32 v62, v36, v10
	v_fmac_f32_e32 v78, v20, v8
	v_mul_f32_e32 v9, v36, v11
	v_fma_f32 v20, v63, v8, -v7
	v_mul_f32_e32 v36, v65, v11
	v_mul_f32_e32 v11, v37, v11
	ds_read2_b32 v[7:8], v49 offset0:94 offset1:193
	v_fmac_f32_e32 v36, v37, v10
	v_fma_f32 v37, v64, v10, -v9
	v_fma_f32 v11, v65, v10, -v11
	ds_read2_b32 v[9:10], v50 offset0:48 offset1:147
	s_waitcnt lgkmcnt(4)
	v_mul_f32_e32 v63, v68, v16
	v_mul_f32_e32 v16, v40, v16
	v_fmac_f32_e32 v63, v40, v15
	v_fma_f32 v15, v68, v15, -v16
	s_waitcnt lgkmcnt(3)
	v_mul_f32_e32 v16, v70, v18
	v_mul_f32_e32 v18, v42, v18
	v_fmac_f32_e32 v16, v42, v17
	v_fma_f32 v17, v70, v17, -v18
	v_mul_f32_e32 v18, v69, v25
	v_mul_f32_e32 v25, v41, v25
	v_fmac_f32_e32 v18, v41, v24
	v_fma_f32 v24, v69, v24, -v25
	;; [unrolled: 4-line block ×3, first 2 shown]
	s_waitcnt vmcnt(1) lgkmcnt(1)
	v_mul_f32_e32 v27, v7, v29
	v_mul_f32_e32 v29, v54, v29
	v_fmac_f32_e32 v27, v54, v28
	v_fma_f32 v7, v7, v28, -v29
	s_waitcnt lgkmcnt(0)
	v_mul_f32_e32 v28, v9, v31
	v_mul_f32_e32 v29, v56, v31
	v_fmac_f32_e32 v28, v56, v30
	v_fma_f32 v9, v9, v30, -v29
	s_waitcnt vmcnt(0)
	v_mul_f32_e32 v29, v8, v33
	v_mul_f32_e32 v30, v55, v33
	v_fmac_f32_e32 v29, v55, v32
	v_fma_f32 v8, v8, v32, -v30
	v_mul_f32_e32 v31, v57, v35
	v_add_f32_e32 v32, v77, v62
	v_mul_f32_e32 v30, v10, v35
	v_fma_f32 v10, v10, v34, -v31
	v_add_f32_e32 v31, v12, v77
	v_fma_f32 v12, -0.5, v32, v12
	v_sub_f32_e32 v32, v19, v37
	v_mov_b32_e32 v33, v12
	v_fmac_f32_e32 v33, 0xbf5db3d7, v32
	v_fmac_f32_e32 v12, 0x3f5db3d7, v32
	v_add_f32_e32 v32, v60, v19
	v_add_f32_e32 v19, v19, v37
	v_fma_f32 v41, -0.5, v19, v60
	v_add_f32_e32 v40, v32, v37
	v_sub_f32_e32 v19, v77, v62
	v_mov_b32_e32 v42, v41
	v_add_f32_e32 v32, v78, v36
	v_fmac_f32_e32 v42, 0x3f5db3d7, v19
	v_fmac_f32_e32 v41, 0xbf5db3d7, v19
	v_add_f32_e32 v19, v13, v78
	v_fmac_f32_e32 v13, -0.5, v32
	v_fmac_f32_e32 v30, v57, v34
	v_sub_f32_e32 v32, v20, v11
	v_mov_b32_e32 v34, v13
	v_fmac_f32_e32 v34, 0xbf5db3d7, v32
	v_fmac_f32_e32 v13, 0x3f5db3d7, v32
	v_add_f32_e32 v32, v61, v20
	v_add_f32_e32 v43, v32, v11
	;; [unrolled: 1-line block ×4, first 2 shown]
	v_fma_f32 v20, -0.5, v20, v38
	v_fmac_f32_e32 v61, -0.5, v11
	v_sub_f32_e32 v32, v15, v17
	v_mov_b32_e32 v35, v20
	v_sub_f32_e32 v11, v78, v36
	v_mov_b32_e32 v54, v61
	v_fmac_f32_e32 v35, 0xbf5db3d7, v32
	v_fmac_f32_e32 v20, 0x3f5db3d7, v32
	v_add_f32_e32 v32, v66, v15
	v_add_f32_e32 v15, v15, v17
	v_fmac_f32_e32 v54, 0x3f5db3d7, v11
	v_fmac_f32_e32 v61, 0xbf5db3d7, v11
	v_add_f32_e32 v11, v38, v63
	v_fma_f32 v15, -0.5, v15, v66
	v_add_f32_e32 v11, v11, v16
	v_add_f32_e32 v55, v32, v17
	v_sub_f32_e32 v16, v63, v16
	v_mov_b32_e32 v17, v15
	v_add_f32_e32 v32, v18, v25
	v_fmac_f32_e32 v17, 0x3f5db3d7, v16
	v_fmac_f32_e32 v15, 0xbf5db3d7, v16
	v_add_f32_e32 v16, v39, v18
	v_fmac_f32_e32 v39, -0.5, v32
	v_add_f32_e32 v19, v19, v36
	v_sub_f32_e32 v32, v24, v26
	v_mov_b32_e32 v36, v39
	v_fmac_f32_e32 v36, 0xbf5db3d7, v32
	v_fmac_f32_e32 v39, 0x3f5db3d7, v32
	v_add_f32_e32 v32, v67, v24
	v_add_f32_e32 v24, v24, v26
	v_fmac_f32_e32 v67, -0.5, v24
	v_add_f32_e32 v24, v27, v28
	v_fma_f32 v24, -0.5, v24, v52
	v_add_f32_e32 v16, v16, v25
	v_add_f32_e32 v56, v32, v26
	v_sub_f32_e32 v18, v18, v25
	v_sub_f32_e32 v25, v7, v9
	v_mov_b32_e32 v26, v24
	v_fmac_f32_e32 v26, 0xbf5db3d7, v25
	v_fmac_f32_e32 v24, 0x3f5db3d7, v25
	v_add_f32_e32 v25, v72, v7
	v_add_f32_e32 v7, v7, v9
	v_mov_b32_e32 v57, v67
	v_fma_f32 v7, -0.5, v7, v72
	v_fmac_f32_e32 v57, 0x3f5db3d7, v18
	v_fmac_f32_e32 v67, 0xbf5db3d7, v18
	v_add_f32_e32 v18, v52, v27
	v_add_f32_e32 v52, v25, v9
	v_sub_f32_e32 v9, v27, v28
	v_mov_b32_e32 v60, v7
	v_add_f32_e32 v25, v29, v30
	v_fmac_f32_e32 v60, 0x3f5db3d7, v9
	v_fmac_f32_e32 v7, 0xbf5db3d7, v9
	v_add_f32_e32 v9, v53, v29
	v_fmac_f32_e32 v53, -0.5, v25
	v_sub_f32_e32 v25, v8, v10
	v_mov_b32_e32 v27, v53
	v_fmac_f32_e32 v27, 0xbf5db3d7, v25
	v_fmac_f32_e32 v53, 0x3f5db3d7, v25
	v_add_f32_e32 v25, v73, v8
	v_add_f32_e32 v8, v8, v10
	v_fmac_f32_e32 v73, -0.5, v8
	v_add_f32_e32 v31, v31, v62
	v_add_f32_e32 v62, v25, v10
	v_sub_f32_e32 v8, v29, v30
	v_mov_b32_e32 v10, v73
	v_fmac_f32_e32 v10, 0x3f5db3d7, v8
	v_fmac_f32_e32 v73, 0xbf5db3d7, v8
	v_add_u32_e32 v8, 0x800, v4
	s_barrier
	ds_write2_b32 v44, v31, v33 offset1:99
	ds_write2_b32 v47, v12, v19 offset0:70 offset1:169
	ds_write2_b32 v51, v34, v13 offset0:140 offset1:239
	;; [unrolled: 1-line block ×3, first 2 shown]
	ds_write_b32 v4, v20 offset:3168
	v_lshl_add_u32 v11, v74, 2, 0
	v_add_u32_e32 v12, 0xc00, v11
	v_lshl_add_u32 v13, v75, 2, 0
	v_add_f32_e32 v18, v18, v28
	ds_write2_b32 v12, v16, v36 offset0:123 offset1:222
	ds_write_b32 v11, v39 offset:4356
	v_add_u32_e32 v16, 0x1200, v13
	ds_write2_b32 v16, v18, v26 offset0:36 offset1:135
	ds_write_b32 v13, v24 offset:5544
	v_lshl_add_u32 v18, v76, 2, 0
	v_add_f32_e32 v9, v9, v30
	v_add_u32_e32 v63, 0x1600, v18
	ds_write2_b32 v63, v9, v27 offset0:77 offset1:176
	ds_write_b32 v18, v53 offset:6732
	s_waitcnt lgkmcnt(0)
	s_barrier
	ds_read2_b32 v[19:20], v44 offset1:99
	ds_read2_b32 v[24:25], v45 offset0:82 offset1:181
	ds_read2_b32 v[26:27], v3 offset0:36 offset1:135
	;; [unrolled: 1-line block ×8, first 2 shown]
	s_waitcnt lgkmcnt(0)
	s_barrier
	ds_write2_b32 v44, v40, v42 offset1:99
	ds_write2_b32 v47, v41, v43 offset0:70 offset1:169
	ds_write2_b32 v51, v54, v61 offset0:140 offset1:239
	;; [unrolled: 1-line block ×3, first 2 shown]
	ds_write_b32 v4, v15 offset:3168
	ds_write2_b32 v12, v56, v57 offset0:123 offset1:222
	ds_write_b32 v11, v67 offset:4356
	ds_write2_b32 v16, v52, v60 offset0:36 offset1:135
	;; [unrolled: 2-line block ×3, first 2 shown]
	ds_write_b32 v18, v73 offset:6732
	v_lshlrev_b32_e32 v4, 1, v14
	v_lshlrev_b64 v[11:12], 3, v[4:5]
	s_waitcnt lgkmcnt(0)
	v_add_co_u32_e32 v11, vcc, s8, v11
	s_barrier
	global_load_dwordx4 v[7:10], v[58:59], off offset:2288
	v_addc_co_u32_e32 v12, vcc, v21, v12, vcc
	global_load_dwordx4 v[11:14], v[11:12], off offset:2288
	v_lshlrev_b32_e32 v4, 1, v6
	v_lshlrev_b64 v[15:16], 3, v[4:5]
	v_add_co_u32_e32 v15, vcc, s8, v15
	v_addc_co_u32_e32 v16, vcc, v21, v16, vcc
	global_load_dwordx4 v[15:18], v[15:16], off offset:2288
	ds_read2_b32 v[40:41], v44 offset1:99
	ds_read2_b32 v[42:43], v45 offset0:82 offset1:181
	ds_read2_b32 v[52:53], v3 offset0:36 offset1:135
	;; [unrolled: 1-line block ×8, first 2 shown]
	s_waitcnt vmcnt(0) lgkmcnt(0)
	s_barrier
	v_mul_f32_e32 v6, v24, v8
	v_mul_f32_e32 v4, v42, v8
	v_fma_f32 v6, v42, v7, -v6
	v_mul_f32_e32 v42, v53, v14
	v_fmac_f32_e32 v42, v27, v13
	v_mul_f32_e32 v27, v27, v14
	v_mul_f32_e32 v21, v52, v10
	v_fma_f32 v27, v53, v13, -v27
	v_mul_f32_e32 v53, v57, v8
	v_mul_f32_e32 v8, v31, v8
	v_fmac_f32_e32 v4, v24, v7
	v_fmac_f32_e32 v21, v26, v9
	v_mul_f32_e32 v24, v26, v10
	v_mul_f32_e32 v26, v43, v12
	v_fmac_f32_e32 v53, v31, v7
	v_fma_f32 v7, v57, v7, -v8
	v_mul_f32_e32 v8, v59, v10
	v_mul_f32_e32 v10, v33, v10
	v_fma_f32 v24, v52, v9, -v24
	v_fmac_f32_e32 v26, v25, v11
	v_mul_f32_e32 v25, v25, v12
	v_fmac_f32_e32 v8, v33, v9
	v_fma_f32 v9, v59, v9, -v10
	v_mul_f32_e32 v10, v62, v12
	v_mul_f32_e32 v12, v36, v12
	v_fma_f32 v25, v43, v11, -v25
	v_mul_f32_e32 v43, v56, v16
	v_fmac_f32_e32 v10, v36, v11
	v_fma_f32 v11, v62, v11, -v12
	v_mul_f32_e32 v12, v64, v14
	v_mul_f32_e32 v14, v38, v14
	v_fmac_f32_e32 v43, v30, v15
	v_mul_f32_e32 v30, v30, v16
	v_mul_f32_e32 v52, v58, v18
	v_fmac_f32_e32 v12, v38, v13
	v_fma_f32 v13, v64, v13, -v14
	v_mul_f32_e32 v14, v63, v16
	v_mul_f32_e32 v16, v37, v16
	v_fma_f32 v30, v56, v15, -v30
	v_fmac_f32_e32 v52, v32, v17
	v_mul_f32_e32 v32, v32, v18
	v_fmac_f32_e32 v14, v37, v15
	v_fma_f32 v15, v63, v15, -v16
	v_mul_f32_e32 v16, v65, v18
	v_mul_f32_e32 v18, v39, v18
	v_add_f32_e32 v31, v4, v21
	v_fma_f32 v32, v58, v17, -v32
	v_fmac_f32_e32 v16, v39, v17
	v_fma_f32 v17, v65, v17, -v18
	v_add_f32_e32 v18, v19, v4
	v_fma_f32 v19, -0.5, v31, v19
	v_sub_f32_e32 v31, v6, v24
	v_mov_b32_e32 v33, v19
	v_fmac_f32_e32 v33, 0xbf5db3d7, v31
	v_fmac_f32_e32 v19, 0x3f5db3d7, v31
	v_add_f32_e32 v31, v40, v6
	v_add_f32_e32 v6, v6, v24
	v_fma_f32 v36, -0.5, v6, v40
	v_sub_f32_e32 v4, v4, v21
	v_mov_b32_e32 v37, v36
	v_add_f32_e32 v6, v26, v42
	v_fmac_f32_e32 v37, 0x3f5db3d7, v4
	v_fmac_f32_e32 v36, 0xbf5db3d7, v4
	v_add_f32_e32 v4, v20, v26
	v_fmac_f32_e32 v20, -0.5, v6
	v_add_f32_e32 v18, v18, v21
	v_sub_f32_e32 v6, v25, v27
	v_mov_b32_e32 v21, v20
	v_add_f32_e32 v31, v31, v24
	v_fmac_f32_e32 v21, 0xbf5db3d7, v6
	v_fmac_f32_e32 v20, 0x3f5db3d7, v6
	v_add_f32_e32 v6, v41, v25
	v_add_f32_e32 v24, v43, v52
	;; [unrolled: 1-line block ×4, first 2 shown]
	v_fma_f32 v24, -0.5, v24, v28
	v_fmac_f32_e32 v41, -0.5, v6
	v_sub_f32_e32 v6, v26, v42
	v_sub_f32_e32 v25, v30, v32
	v_mov_b32_e32 v26, v24
	v_fmac_f32_e32 v26, 0xbf5db3d7, v25
	v_fmac_f32_e32 v24, 0x3f5db3d7, v25
	v_add_f32_e32 v25, v54, v30
	v_add_f32_e32 v40, v25, v32
	v_add_f32_e32 v25, v30, v32
	v_fma_f32 v30, -0.5, v25, v54
	v_sub_f32_e32 v25, v43, v52
	v_mov_b32_e32 v32, v30
	v_add_f32_e32 v27, v53, v8
	v_mov_b32_e32 v39, v41
	v_fmac_f32_e32 v32, 0x3f5db3d7, v25
	v_fmac_f32_e32 v30, 0xbf5db3d7, v25
	v_add_f32_e32 v25, v29, v53
	v_fmac_f32_e32 v29, -0.5, v27
	v_fmac_f32_e32 v39, 0x3f5db3d7, v6
	v_fmac_f32_e32 v41, 0xbf5db3d7, v6
	v_add_f32_e32 v6, v28, v43
	v_sub_f32_e32 v27, v7, v9
	v_mov_b32_e32 v28, v29
	v_fmac_f32_e32 v28, 0xbf5db3d7, v27
	v_fmac_f32_e32 v29, 0x3f5db3d7, v27
	v_add_f32_e32 v27, v55, v7
	v_add_f32_e32 v7, v7, v9
	;; [unrolled: 1-line block ×3, first 2 shown]
	v_fmac_f32_e32 v55, -0.5, v7
	v_sub_f32_e32 v7, v53, v8
	v_add_f32_e32 v8, v10, v12
	v_fma_f32 v8, -0.5, v8, v34
	v_add_f32_e32 v4, v4, v42
	v_add_f32_e32 v42, v27, v9
	v_sub_f32_e32 v9, v11, v13
	v_mov_b32_e32 v27, v8
	v_mov_b32_e32 v43, v55
	v_fmac_f32_e32 v27, 0xbf5db3d7, v9
	v_fmac_f32_e32 v8, 0x3f5db3d7, v9
	v_add_f32_e32 v9, v60, v11
	v_fmac_f32_e32 v43, 0x3f5db3d7, v7
	v_fmac_f32_e32 v55, 0xbf5db3d7, v7
	v_add_f32_e32 v7, v34, v10
	v_add_f32_e32 v34, v9, v13
	;; [unrolled: 1-line block ×4, first 2 shown]
	v_fma_f32 v52, -0.5, v9, v60
	v_sub_f32_e32 v9, v10, v12
	v_mov_b32_e32 v53, v52
	v_add_f32_e32 v10, v14, v16
	v_fmac_f32_e32 v53, 0x3f5db3d7, v9
	v_fmac_f32_e32 v52, 0xbf5db3d7, v9
	v_add_f32_e32 v9, v35, v14
	v_fmac_f32_e32 v35, -0.5, v10
	v_sub_f32_e32 v10, v15, v17
	v_mov_b32_e32 v11, v35
	v_fmac_f32_e32 v11, 0xbf5db3d7, v10
	v_fmac_f32_e32 v35, 0x3f5db3d7, v10
	v_add_f32_e32 v10, v61, v15
	v_add_f32_e32 v54, v10, v17
	;; [unrolled: 1-line block ×5, first 2 shown]
	v_fmac_f32_e32 v61, -0.5, v10
	ds_write2_b32 v44, v18, v4 offset1:99
	ds_write2_b32 v45, v19, v20 offset0:82 offset1:181
	ds_write2_b32 v47, v6, v33 offset0:70 offset1:169
	;; [unrolled: 1-line block ×8, first 2 shown]
	v_lshl_add_u32 v4, v2, 2, 0
	v_sub_f32_e32 v10, v14, v16
	v_mov_b32_e32 v56, v61
	v_add_u32_e32 v24, 0x1000, v44
	v_add_u32_e32 v27, 0x1600, v44
	;; [unrolled: 1-line block ×3, first 2 shown]
	v_fmac_f32_e32 v56, 0x3f5db3d7, v10
	v_fmac_f32_e32 v61, 0xbf5db3d7, v10
	s_waitcnt lgkmcnt(0)
	s_barrier
	ds_read2_b32 v[6:7], v44 offset1:99
	ds_read2_b32 v[8:9], v48 offset0:123 offset1:222
	ds_read2_b32 v[10:11], v47 offset0:70 offset1:169
	;; [unrolled: 1-line block ×7, first 2 shown]
	ds_read_b32 v25, v44 offset:2376
	ds_read_b32 v26, v44 offset:6732
	s_waitcnt lgkmcnt(0)
	s_barrier
	ds_write2_b32 v44, v31, v38 offset1:99
	ds_write2_b32 v45, v36, v41 offset0:82 offset1:181
	ds_write2_b32 v47, v40, v37 offset0:70 offset1:169
	ds_write2_b32 v51, v39, v32 offset0:140 offset1:239
	ds_write2_b32 v48, v30, v42 offset0:24 offset1:123
	ds_write2_b32 v3, v43, v53 offset0:36 offset1:135
	ds_write2_b32 v49, v34, v54 offset0:94 offset1:193
	ds_write2_b32 v46, v56, v55 offset0:106 offset1:205
	ds_write2_b32 v50, v52, v61 offset0:48 offset1:147
	s_waitcnt lgkmcnt(0)
	s_barrier
	s_and_saveexec_b64 s[6:7], s[0:1]
	s_cbranch_execz .LBB0_19
; %bb.18:
	v_add_u32_e32 v4, 0x318, v2
	v_lshlrev_b64 v[32:33], 3, v[4:5]
	v_mov_b32_e32 v40, s9
	v_add_co_u32_e32 v3, vcc, s8, v32
	v_addc_co_u32_e32 v30, vcc, v40, v33, vcc
	v_add_co_u32_e32 v32, vcc, 0x1000, v3
	v_add_u32_e32 v29, 0x2b5, v2
	v_addc_co_u32_e32 v33, vcc, 0, v30, vcc
	v_mov_b32_e32 v30, v5
	v_lshlrev_b64 v[34:35], 3, v[29:30]
	v_add_u32_e32 v31, 0x252, v2
	v_add_co_u32_e32 v3, vcc, s8, v34
	v_addc_co_u32_e32 v30, vcc, v40, v35, vcc
	v_add_co_u32_e32 v34, vcc, s4, v3
	v_addc_co_u32_e32 v35, vcc, 0, v30, vcc
	global_load_dwordx2 v[36:37], v[32:33], off offset:2944
	global_load_dwordx2 v[38:39], v[34:35], off offset:2944
	v_mov_b32_e32 v32, v5
	v_lshlrev_b64 v[30:31], 3, v[31:32]
	s_movk_i32 s0, 0x2000
	v_add_co_u32_e32 v3, vcc, s8, v30
	v_addc_co_u32_e32 v31, vcc, v40, v31, vcc
	v_add_co_u32_e32 v30, vcc, s4, v3
	v_mov_b32_e32 v3, v5
	v_lshlrev_b64 v[2:3], 3, v[2:3]
	v_addc_co_u32_e32 v31, vcc, 0, v31, vcc
	v_add_co_u32_e32 v41, vcc, s8, v2
	global_load_dwordx2 v[30:31], v[30:31], off offset:2944
	v_addc_co_u32_e32 v42, vcc, v40, v3, vcc
	v_add_co_u32_e32 v32, vcc, s0, v41
	v_addc_co_u32_e32 v33, vcc, 0, v42, vcc
	global_load_dwordx2 v[34:35], v[32:33], off offset:2808
	v_add_co_u32_e32 v40, vcc, s4, v41
	v_addc_co_u32_e32 v41, vcc, 0, v42, vcc
	global_load_dwordx2 v[42:43], v[40:41], off offset:2944
	global_load_dwordx2 v[45:46], v[32:33], off offset:2016
	;; [unrolled: 1-line block ×5, first 2 shown]
	ds_read2_b32 v[32:33], v28 offset0:53 offset1:152
	ds_read2_b32 v[27:28], v27 offset0:77 offset1:176
	ds_read_b32 v55, v44 offset:6732
	ds_read_b32 v56, v44 offset:2376
	v_add_u32_e32 v40, 0x400, v44
	v_add_u32_e32 v53, 0x1400, v44
	ds_read2_b32 v[40:41], v40 offset0:140 offset1:239
	ds_read2_b32 v[53:54], v53 offset0:7 offset1:106
	s_mov_b32 s1, 0x931b4b91
	s_waitcnt vmcnt(8)
	v_mul_f32_e32 v57, v26, v37
	s_waitcnt lgkmcnt(3)
	v_mul_f32_e32 v37, v55, v37
	s_waitcnt vmcnt(7)
	v_mul_f32_e32 v58, v21, v39
	v_fmac_f32_e32 v37, v26, v36
	v_fma_f32 v26, v38, v28, -v58
	v_mul_f32_e32 v39, v28, v39
	v_fmac_f32_e32 v39, v21, v38
	s_waitcnt vmcnt(6)
	v_mul_f32_e32 v60, v27, v31
	v_mul_f32_e32 v59, v20, v31
	v_fmac_f32_e32 v60, v20, v30
	v_fma_f32 v28, v30, v27, -v59
	v_sub_f32_e32 v20, v19, v37
	v_sub_f32_e32 v27, v32, v26
	;; [unrolled: 1-line block ×3, first 2 shown]
	v_fma_f32 v31, v36, v55, -v57
	v_fma_f32 v36, v19, 2.0, -v20
	v_fma_f32 v19, v32, 2.0, -v27
	;; [unrolled: 1-line block ×3, first 2 shown]
	s_waitcnt vmcnt(5)
	v_mul_f32_e32 v25, v17, v35
	s_waitcnt lgkmcnt(0)
	v_fma_f32 v25, v34, v54, -v25
	v_sub_f32_e32 v26, v18, v39
	v_sub_f32_e32 v39, v41, v25
	v_mul_f32_e32 v25, v54, v35
	v_fmac_f32_e32 v25, v17, v34
	v_sub_f32_e32 v21, v33, v31
	v_sub_f32_e32 v31, v56, v28
	;; [unrolled: 1-line block ×3, first 2 shown]
	s_waitcnt vmcnt(3)
	v_mul_f32_e32 v28, v53, v46
	v_fma_f32 v54, v15, 2.0, -v38
	v_mul_f32_e32 v15, v16, v46
	v_fmac_f32_e32 v28, v16, v45
	v_add_u32_e32 v16, 0x200, v44
	ds_read2_b32 v[24:25], v24 offset0:65 offset1:164
	ds_read2_b32 v[34:35], v16 offset0:70 offset1:169
	v_sub_f32_e32 v16, v14, v28
	s_waitcnt vmcnt(2)
	v_mul_f32_e32 v28, v13, v48
	v_fma_f32 v15, v45, v53, -v15
	s_waitcnt lgkmcnt(1)
	v_fma_f32 v28, v47, v25, -v28
	v_mul_f32_e32 v25, v25, v48
	v_sub_f32_e32 v17, v40, v15
	v_fmac_f32_e32 v25, v13, v47
	v_fma_f32 v15, v40, 2.0, -v17
	v_sub_f32_e32 v40, v11, v25
	v_fma_f32 v45, v11, 2.0, -v40
	s_waitcnt vmcnt(1)
	v_mul_f32_e32 v11, v12, v50
	v_fma_f32 v55, v41, 2.0, -v39
	s_waitcnt lgkmcnt(0)
	v_sub_f32_e32 v41, v35, v28
	v_fma_f32 v11, v49, v24, -v11
	v_mul_f32_e32 v28, v24, v50
	v_sub_f32_e32 v13, v34, v11
	v_fmac_f32_e32 v28, v12, v49
	v_add_u32_e32 v12, 0xc00, v44
	v_fma_f32 v46, v35, 2.0, -v41
	v_fma_f32 v11, v34, 2.0, -v13
	ds_read2_b32 v[24:25], v12 offset0:123 offset1:222
	ds_read2_b32 v[34:35], v44 offset1:99
	v_sub_f32_e32 v12, v10, v28
	s_waitcnt vmcnt(0)
	v_mul_f32_e32 v28, v9, v52
	v_fma_f32 v10, v10, 2.0, -v12
	s_waitcnt lgkmcnt(1)
	v_fma_f32 v28, v51, v25, -v28
	v_mul_f32_e32 v25, v25, v52
	v_fmac_f32_e32 v25, v9, v51
	v_sub_f32_e32 v47, v7, v25
	v_fma_f32 v49, v7, 2.0, -v47
	v_mul_f32_e32 v7, v8, v43
	v_fma_f32 v7, v42, v24, -v7
	v_mul_f32_e32 v24, v24, v43
	v_fmac_f32_e32 v24, v8, v42
	v_sub_f32_e32 v8, v6, v24
	v_mov_b32_e32 v24, s3
	v_add_co_u32_e32 v25, vcc, s2, v0
	v_addc_co_u32_e32 v24, vcc, v24, v1, vcc
	v_add_co_u32_e32 v0, vcc, v25, v2
	v_addc_co_u32_e32 v1, vcc, v24, v3, vcc
	s_waitcnt lgkmcnt(0)
	v_sub_f32_e32 v9, v34, v7
	v_add_co_u32_e32 v2, vcc, s4, v0
	v_sub_f32_e32 v48, v35, v28
	v_fma_f32 v7, v34, 2.0, -v9
	v_fma_f32 v6, v6, 2.0, -v8
	v_addc_co_u32_e32 v3, vcc, 0, v1, vcc
	v_fma_f32 v50, v35, 2.0, -v48
	global_store_dwordx2 v[0:1], v[6:7], off
	global_store_dwordx2 v[2:3], v[8:9], off offset:3032
	global_store_dwordx2 v[0:1], v[49:50], off offset:792
	;; [unrolled: 1-line block ×4, first 2 shown]
	v_mul_hi_u32 v8, v23, s1
	v_mov_b32_e32 v9, v5
	v_add_co_u32_e32 v6, vcc, s0, v0
	v_lshrrev_b32_e32 v8, 9, v8
	v_mul_u32_u24_e32 v8, 0x37b, v8
	v_lshlrev_b64 v[8:9], 3, v[8:9]
	v_addc_co_u32_e32 v7, vcc, 0, v1, vcc
	v_add_co_u32_e32 v8, vcc, v0, v8
	v_mul_hi_u32 v10, v22, s1
	v_fma_f32 v14, v14, 2.0, -v16
	v_addc_co_u32_e32 v9, vcc, v1, v9, vcc
	global_store_dwordx2 v[6:7], v[12:13], off offset:520
	global_store_dwordx2 v[0:1], v[45:46], off offset:2376
	;; [unrolled: 1-line block ×4, first 2 shown]
	v_add_co_u32_e32 v8, vcc, s0, v8
	v_addc_co_u32_e32 v9, vcc, 0, v9, vcc
	global_store_dwordx2 v[8:9], v[16:17], off offset:2104
	v_lshrrev_b32_e32 v8, 9, v10
	v_mul_u32_u24_e32 v8, 0x37b, v8
	v_mov_b32_e32 v9, v5
	v_lshlrev_b64 v[8:9], 3, v[8:9]
	v_fma_f32 v37, v33, 2.0, -v21
	v_add_co_u32_e32 v0, vcc, v0, v8
	v_mul_hi_u32 v8, v29, s1
	v_addc_co_u32_e32 v1, vcc, v1, v9, vcc
	global_store_dwordx2 v[0:1], v[54:55], off offset:3960
	v_add_co_u32_e32 v0, vcc, s0, v0
	v_addc_co_u32_e32 v1, vcc, 0, v1, vcc
	v_fma_f32 v33, v56, 2.0, -v31
	s_movk_i32 s2, 0x37b
	global_store_dwordx2 v[0:1], v[38:39], off offset:2896
	global_store_dwordx2 v[2:3], v[32:33], off offset:656
	;; [unrolled: 1-line block ×3, first 2 shown]
	v_lshrrev_b32_e32 v0, 9, v8
	v_mad_u32_u24 v0, v0, s2, v29
	v_mov_b32_e32 v1, v5
	v_lshlrev_b64 v[0:1], 3, v[0:1]
	v_mul_hi_u32 v2, v4, s1
	v_add_co_u32_e32 v0, vcc, v25, v0
	v_fma_f32 v18, v18, 2.0, -v26
	v_addc_co_u32_e32 v1, vcc, v24, v1, vcc
	global_store_dwordx2 v[0:1], v[18:19], off
	v_add_co_u32_e32 v0, vcc, s4, v0
	v_addc_co_u32_e32 v1, vcc, 0, v1, vcc
	global_store_dwordx2 v[0:1], v[26:27], off offset:3032
	v_lshrrev_b32_e32 v0, 9, v2
	v_mad_u32_u24 v4, v0, s2, v4
	v_lshlrev_b64 v[0:1], 3, v[4:5]
	v_add_co_u32_e32 v0, vcc, v25, v0
	v_addc_co_u32_e32 v1, vcc, v24, v1, vcc
	global_store_dwordx2 v[0:1], v[36:37], off
	v_add_co_u32_e32 v0, vcc, 0x1000, v0
	v_addc_co_u32_e32 v1, vcc, 0, v1, vcc
	global_store_dwordx2 v[0:1], v[20:21], off offset:3032
.LBB0_19:
	s_endpgm
	.section	.rodata,"a",@progbits
	.p2align	6, 0x0
	.amdhsa_kernel fft_rtc_back_len1782_factors_11_3_3_3_3_2_wgs_99_tpt_99_halfLds_sp_ip_CI_unitstride_sbrr_dirReg
		.amdhsa_group_segment_fixed_size 0
		.amdhsa_private_segment_fixed_size 0
		.amdhsa_kernarg_size 88
		.amdhsa_user_sgpr_count 6
		.amdhsa_user_sgpr_private_segment_buffer 1
		.amdhsa_user_sgpr_dispatch_ptr 0
		.amdhsa_user_sgpr_queue_ptr 0
		.amdhsa_user_sgpr_kernarg_segment_ptr 1
		.amdhsa_user_sgpr_dispatch_id 0
		.amdhsa_user_sgpr_flat_scratch_init 0
		.amdhsa_user_sgpr_private_segment_size 0
		.amdhsa_uses_dynamic_stack 0
		.amdhsa_system_sgpr_private_segment_wavefront_offset 0
		.amdhsa_system_sgpr_workgroup_id_x 1
		.amdhsa_system_sgpr_workgroup_id_y 0
		.amdhsa_system_sgpr_workgroup_id_z 0
		.amdhsa_system_sgpr_workgroup_info 0
		.amdhsa_system_vgpr_workitem_id 0
		.amdhsa_next_free_vgpr 81
		.amdhsa_next_free_sgpr 22
		.amdhsa_reserve_vcc 1
		.amdhsa_reserve_flat_scratch 0
		.amdhsa_float_round_mode_32 0
		.amdhsa_float_round_mode_16_64 0
		.amdhsa_float_denorm_mode_32 3
		.amdhsa_float_denorm_mode_16_64 3
		.amdhsa_dx10_clamp 1
		.amdhsa_ieee_mode 1
		.amdhsa_fp16_overflow 0
		.amdhsa_exception_fp_ieee_invalid_op 0
		.amdhsa_exception_fp_denorm_src 0
		.amdhsa_exception_fp_ieee_div_zero 0
		.amdhsa_exception_fp_ieee_overflow 0
		.amdhsa_exception_fp_ieee_underflow 0
		.amdhsa_exception_fp_ieee_inexact 0
		.amdhsa_exception_int_div_zero 0
	.end_amdhsa_kernel
	.text
.Lfunc_end0:
	.size	fft_rtc_back_len1782_factors_11_3_3_3_3_2_wgs_99_tpt_99_halfLds_sp_ip_CI_unitstride_sbrr_dirReg, .Lfunc_end0-fft_rtc_back_len1782_factors_11_3_3_3_3_2_wgs_99_tpt_99_halfLds_sp_ip_CI_unitstride_sbrr_dirReg
                                        ; -- End function
	.section	.AMDGPU.csdata,"",@progbits
; Kernel info:
; codeLenInByte = 12492
; NumSgprs: 26
; NumVgprs: 81
; ScratchSize: 0
; MemoryBound: 0
; FloatMode: 240
; IeeeMode: 1
; LDSByteSize: 0 bytes/workgroup (compile time only)
; SGPRBlocks: 3
; VGPRBlocks: 20
; NumSGPRsForWavesPerEU: 26
; NumVGPRsForWavesPerEU: 81
; Occupancy: 3
; WaveLimiterHint : 1
; COMPUTE_PGM_RSRC2:SCRATCH_EN: 0
; COMPUTE_PGM_RSRC2:USER_SGPR: 6
; COMPUTE_PGM_RSRC2:TRAP_HANDLER: 0
; COMPUTE_PGM_RSRC2:TGID_X_EN: 1
; COMPUTE_PGM_RSRC2:TGID_Y_EN: 0
; COMPUTE_PGM_RSRC2:TGID_Z_EN: 0
; COMPUTE_PGM_RSRC2:TIDIG_COMP_CNT: 0
	.type	__hip_cuid_1a24734a3e13a38c,@object ; @__hip_cuid_1a24734a3e13a38c
	.section	.bss,"aw",@nobits
	.globl	__hip_cuid_1a24734a3e13a38c
__hip_cuid_1a24734a3e13a38c:
	.byte	0                               ; 0x0
	.size	__hip_cuid_1a24734a3e13a38c, 1

	.ident	"AMD clang version 19.0.0git (https://github.com/RadeonOpenCompute/llvm-project roc-6.4.0 25133 c7fe45cf4b819c5991fe208aaa96edf142730f1d)"
	.section	".note.GNU-stack","",@progbits
	.addrsig
	.addrsig_sym __hip_cuid_1a24734a3e13a38c
	.amdgpu_metadata
---
amdhsa.kernels:
  - .args:
      - .actual_access:  read_only
        .address_space:  global
        .offset:         0
        .size:           8
        .value_kind:     global_buffer
      - .offset:         8
        .size:           8
        .value_kind:     by_value
      - .actual_access:  read_only
        .address_space:  global
        .offset:         16
        .size:           8
        .value_kind:     global_buffer
      - .actual_access:  read_only
        .address_space:  global
        .offset:         24
        .size:           8
        .value_kind:     global_buffer
      - .offset:         32
        .size:           8
        .value_kind:     by_value
      - .actual_access:  read_only
        .address_space:  global
        .offset:         40
        .size:           8
        .value_kind:     global_buffer
      - .actual_access:  read_only
        .address_space:  global
        .offset:         48
        .size:           8
        .value_kind:     global_buffer
      - .offset:         56
        .size:           4
        .value_kind:     by_value
      - .actual_access:  read_only
        .address_space:  global
        .offset:         64
        .size:           8
        .value_kind:     global_buffer
      - .actual_access:  read_only
        .address_space:  global
        .offset:         72
        .size:           8
        .value_kind:     global_buffer
      - .address_space:  global
        .offset:         80
        .size:           8
        .value_kind:     global_buffer
    .group_segment_fixed_size: 0
    .kernarg_segment_align: 8
    .kernarg_segment_size: 88
    .language:       OpenCL C
    .language_version:
      - 2
      - 0
    .max_flat_workgroup_size: 99
    .name:           fft_rtc_back_len1782_factors_11_3_3_3_3_2_wgs_99_tpt_99_halfLds_sp_ip_CI_unitstride_sbrr_dirReg
    .private_segment_fixed_size: 0
    .sgpr_count:     26
    .sgpr_spill_count: 0
    .symbol:         fft_rtc_back_len1782_factors_11_3_3_3_3_2_wgs_99_tpt_99_halfLds_sp_ip_CI_unitstride_sbrr_dirReg.kd
    .uniform_work_group_size: 1
    .uses_dynamic_stack: false
    .vgpr_count:     81
    .vgpr_spill_count: 0
    .wavefront_size: 64
amdhsa.target:   amdgcn-amd-amdhsa--gfx906
amdhsa.version:
  - 1
  - 2
...

	.end_amdgpu_metadata
